;; amdgpu-corpus repo=ROCm/rocFFT kind=compiled arch=gfx1100 opt=O3
	.text
	.amdgcn_target "amdgcn-amd-amdhsa--gfx1100"
	.amdhsa_code_object_version 6
	.protected	fft_rtc_back_len289_factors_17_17_wgs_119_tpt_17_dp_op_CI_CI_sbcc_twdbase8_2step_dirReg_intrinsicRead ; -- Begin function fft_rtc_back_len289_factors_17_17_wgs_119_tpt_17_dp_op_CI_CI_sbcc_twdbase8_2step_dirReg_intrinsicRead
	.globl	fft_rtc_back_len289_factors_17_17_wgs_119_tpt_17_dp_op_CI_CI_sbcc_twdbase8_2step_dirReg_intrinsicRead
	.p2align	8
	.type	fft_rtc_back_len289_factors_17_17_wgs_119_tpt_17_dp_op_CI_CI_sbcc_twdbase8_2step_dirReg_intrinsicRead,@function
fft_rtc_back_len289_factors_17_17_wgs_119_tpt_17_dp_op_CI_CI_sbcc_twdbase8_2step_dirReg_intrinsicRead: ; @fft_rtc_back_len289_factors_17_17_wgs_119_tpt_17_dp_op_CI_CI_sbcc_twdbase8_2step_dirReg_intrinsicRead
; %bb.0:
	s_clause 0x1
	s_load_b128 s[16:19], s[0:1], 0x18
	s_load_b64 s[26:27], s[0:1], 0x28
	v_mov_b32_e32 v2, v0
	s_mov_b32 s28, s15
	s_mov_b32 s29, 0
	s_mov_b64 s[22:23], 0
	s_waitcnt lgkmcnt(0)
	s_load_b64 s[24:25], s[16:17], 0x8
	s_waitcnt lgkmcnt(0)
	s_add_u32 s2, s24, -1
	s_addc_u32 s3, s25, -1
	s_add_u32 s4, 0, 0x92481000
	s_addc_u32 s5, 0, 0x64
	s_mul_hi_u32 s7, s4, -7
	s_add_i32 s5, s5, 0x249248c0
	s_sub_i32 s7, s7, s4
	s_mul_i32 s9, s5, -7
	s_mul_i32 s6, s4, -7
	s_add_i32 s7, s7, s9
	s_mul_hi_u32 s8, s4, s6
	s_mul_i32 s11, s4, s7
	s_mul_hi_u32 s9, s4, s7
	s_mul_hi_u32 s10, s5, s6
	s_mul_i32 s6, s5, s6
	s_add_u32 s8, s8, s11
	s_addc_u32 s9, 0, s9
	s_mul_hi_u32 s12, s5, s7
	s_add_u32 s6, s8, s6
	s_mul_i32 s7, s5, s7
	s_addc_u32 s6, s9, s10
	s_addc_u32 s8, s12, 0
	s_add_u32 s6, s6, s7
	s_delay_alu instid0(SALU_CYCLE_1) | instskip(SKIP_3) | instid1(VALU_DEP_1)
	v_add_co_u32 v0, s4, s4, s6
	s_addc_u32 s6, 0, s8
	s_cmp_lg_u32 s4, 0
	s_addc_u32 s4, s5, s6
	v_readfirstlane_b32 s5, v0
	s_mul_i32 s7, s2, s4
	s_mul_hi_u32 s6, s2, s4
	s_mul_hi_u32 s8, s3, s4
	s_mul_i32 s4, s3, s4
	s_mul_hi_u32 s9, s2, s5
	s_mul_hi_u32 s10, s3, s5
	s_mul_i32 s5, s3, s5
	s_add_u32 s7, s9, s7
	s_addc_u32 s6, 0, s6
	s_add_u32 s5, s7, s5
	s_addc_u32 s5, s6, s10
	s_addc_u32 s6, s8, 0
	s_add_u32 s4, s5, s4
	s_addc_u32 s5, 0, s6
	s_mul_i32 s7, s4, 7
	s_add_u32 s6, s4, 1
	v_sub_co_u32 v0, s2, s2, s7
	s_mul_hi_u32 s7, s4, 7
	s_addc_u32 s8, s5, 0
	s_mul_i32 s9, s5, 7
	s_delay_alu instid0(VALU_DEP_1)
	v_sub_co_u32 v1, s10, v0, 7
	s_add_u32 s11, s4, 2
	s_addc_u32 s12, s5, 0
	s_add_i32 s7, s7, s9
	s_cmp_lg_u32 s2, 0
	v_readfirstlane_b32 s2, v1
	s_subb_u32 s3, s3, s7
	s_cmp_lg_u32 s10, 0
	s_subb_u32 s7, s3, 0
	s_delay_alu instid0(VALU_DEP_1) | instskip(SKIP_4) | instid1(SALU_CYCLE_1)
	s_cmp_gt_u32 s2, 6
	s_cselect_b32 s2, -1, 0
	s_cmp_eq_u32 s7, 0
	v_readfirstlane_b32 s7, v0
	s_cselect_b32 s2, s2, -1
	s_cmp_lg_u32 s2, 0
	s_cselect_b32 s2, s11, s6
	s_cselect_b32 s6, s12, s8
	s_cmp_gt_u32 s7, 6
	s_cselect_b32 s7, -1, 0
	s_cmp_eq_u32 s3, 0
	s_cselect_b32 s3, s7, -1
	s_delay_alu instid0(SALU_CYCLE_1) | instskip(SKIP_4) | instid1(SALU_CYCLE_1)
	s_cmp_lg_u32 s3, 0
	s_cselect_b32 s2, s2, s4
	s_cselect_b32 s3, s6, s5
	s_add_u32 s30, s2, 1
	s_addc_u32 s31, s3, 0
	v_cmp_lt_u64_e64 s2, s[28:29], s[30:31]
	s_delay_alu instid0(VALU_DEP_1)
	s_and_b32 vcc_lo, exec_lo, s2
	s_cbranch_vccnz .LBB0_2
; %bb.1:
	v_cvt_f32_u32_e32 v0, s30
	s_sub_i32 s3, 0, s30
	s_mov_b32 s23, s29
	s_delay_alu instid0(VALU_DEP_1) | instskip(SKIP_2) | instid1(VALU_DEP_1)
	v_rcp_iflag_f32_e32 v0, v0
	s_waitcnt_depctr 0xfff
	v_mul_f32_e32 v0, 0x4f7ffffe, v0
	v_cvt_u32_f32_e32 v0, v0
	s_delay_alu instid0(VALU_DEP_1) | instskip(NEXT) | instid1(VALU_DEP_1)
	v_readfirstlane_b32 s2, v0
	s_mul_i32 s3, s3, s2
	s_delay_alu instid0(SALU_CYCLE_1) | instskip(NEXT) | instid1(SALU_CYCLE_1)
	s_mul_hi_u32 s3, s2, s3
	s_add_i32 s2, s2, s3
	s_delay_alu instid0(SALU_CYCLE_1) | instskip(NEXT) | instid1(SALU_CYCLE_1)
	s_mul_hi_u32 s2, s28, s2
	s_mul_i32 s3, s2, s30
	s_add_i32 s4, s2, 1
	s_sub_i32 s3, s28, s3
	s_delay_alu instid0(SALU_CYCLE_1)
	s_sub_i32 s5, s3, s30
	s_cmp_ge_u32 s3, s30
	s_cselect_b32 s2, s4, s2
	s_cselect_b32 s3, s5, s3
	s_add_i32 s4, s2, 1
	s_cmp_ge_u32 s3, s30
	s_cselect_b32 s22, s4, s2
.LBB0_2:
	s_load_b128 s[12:15], s[18:19], 0x0
	s_load_b128 s[4:7], s[26:27], 0x0
	s_clause 0x1
	s_load_b128 s[8:11], s[0:1], 0x8
	s_load_b64 s[34:35], s[0:1], 0x0
	s_mul_i32 s2, s22, s31
	s_mul_hi_u32 s3, s22, s30
	s_waitcnt lgkmcnt(0)
	s_mul_i32 s13, s22, s30
	s_add_i32 s3, s3, s2
	s_sub_u32 s33, s28, s13
	s_subb_u32 s2, 0, s3
	s_mul_hi_u32 s13, s33, 7
	s_mul_i32 s20, s2, 7
	s_load_b128 s[0:3], s[0:1], 0x60
	s_add_i32 s13, s13, s20
	s_mul_i32 s33, s33, 7
	s_mul_i32 s20, s14, s13
	s_mul_hi_u32 s21, s14, s33
	v_cmp_lt_u64_e64 s40, s[10:11], 3
	s_mul_i32 s37, s6, s13
	s_mul_hi_u32 s38, s6, s33
	s_mul_i32 s36, s15, s33
	s_mul_i32 s39, s7, s33
	s_add_i32 s20, s21, s20
	s_add_i32 s21, s38, s37
	;; [unrolled: 1-line block ×3, first 2 shown]
	s_mul_i32 s48, s14, s33
	s_add_i32 s21, s21, s39
	s_and_b32 vcc_lo, exec_lo, s40
	s_mul_i32 s20, s6, s33
	s_cbranch_vccnz .LBB0_12
; %bb.3:
	s_add_u32 s36, s26, 16
	s_addc_u32 s37, s27, 0
	s_add_u32 s38, s18, 16
	s_addc_u32 s39, s19, 0
	;; [unrolled: 2-line block ×3, first 2 shown]
	s_mov_b64 s[40:41], 2
	s_mov_b32 s42, 0
.LBB0_4:                                ; =>This Inner Loop Header: Depth=1
	s_load_b64 s[44:45], s[16:17], 0x0
	s_waitcnt lgkmcnt(0)
	s_or_b64 s[46:47], s[22:23], s[44:45]
	s_delay_alu instid0(SALU_CYCLE_1) | instskip(NEXT) | instid1(SALU_CYCLE_1)
	s_mov_b32 s43, s47
                                        ; implicit-def: $sgpr46_sgpr47
	s_cmp_lg_u64 s[42:43], 0
	s_mov_b32 s43, -1
	s_cbranch_scc0 .LBB0_6
; %bb.5:                                ;   in Loop: Header=BB0_4 Depth=1
	v_cvt_f32_u32_e32 v0, s44
	v_cvt_f32_u32_e32 v1, s45
	s_sub_u32 s47, 0, s44
	s_subb_u32 s50, 0, s45
	s_delay_alu instid0(VALU_DEP_1) | instskip(NEXT) | instid1(VALU_DEP_1)
	v_fmac_f32_e32 v0, 0x4f800000, v1
	v_rcp_f32_e32 v0, v0
	s_waitcnt_depctr 0xfff
	v_mul_f32_e32 v0, 0x5f7ffffc, v0
	s_delay_alu instid0(VALU_DEP_1) | instskip(NEXT) | instid1(VALU_DEP_1)
	v_mul_f32_e32 v1, 0x2f800000, v0
	v_trunc_f32_e32 v1, v1
	s_delay_alu instid0(VALU_DEP_1) | instskip(SKIP_1) | instid1(VALU_DEP_2)
	v_fmac_f32_e32 v0, 0xcf800000, v1
	v_cvt_u32_f32_e32 v1, v1
	v_cvt_u32_f32_e32 v0, v0
	s_delay_alu instid0(VALU_DEP_2) | instskip(NEXT) | instid1(VALU_DEP_2)
	v_readfirstlane_b32 s43, v1
	v_readfirstlane_b32 s46, v0
	s_delay_alu instid0(VALU_DEP_2) | instskip(NEXT) | instid1(VALU_DEP_1)
	s_mul_i32 s51, s47, s43
	s_mul_hi_u32 s53, s47, s46
	s_mul_i32 s52, s50, s46
	s_add_i32 s51, s53, s51
	s_mul_i32 s54, s47, s46
	s_add_i32 s51, s51, s52
	s_mul_hi_u32 s53, s46, s54
	s_mul_hi_u32 s55, s43, s54
	s_mul_i32 s52, s43, s54
	s_mul_hi_u32 s54, s46, s51
	s_mul_i32 s46, s46, s51
	s_mul_hi_u32 s56, s43, s51
	s_add_u32 s46, s53, s46
	s_addc_u32 s53, 0, s54
	s_add_u32 s46, s46, s52
	s_mul_i32 s51, s43, s51
	s_addc_u32 s46, s53, s55
	s_addc_u32 s52, s56, 0
	s_add_u32 s46, s46, s51
	s_addc_u32 s51, 0, s52
	v_add_co_u32 v0, s46, v0, s46
	s_delay_alu instid0(VALU_DEP_1) | instskip(SKIP_1) | instid1(VALU_DEP_1)
	s_cmp_lg_u32 s46, 0
	s_addc_u32 s43, s43, s51
	v_readfirstlane_b32 s46, v0
	s_mul_i32 s51, s47, s43
	s_delay_alu instid0(VALU_DEP_1)
	s_mul_hi_u32 s52, s47, s46
	s_mul_i32 s50, s50, s46
	s_add_i32 s51, s52, s51
	s_mul_i32 s47, s47, s46
	s_add_i32 s51, s51, s50
	s_mul_hi_u32 s52, s43, s47
	s_mul_i32 s53, s43, s47
	s_mul_hi_u32 s47, s46, s47
	s_mul_hi_u32 s54, s46, s51
	s_mul_i32 s46, s46, s51
	s_mul_hi_u32 s50, s43, s51
	s_add_u32 s46, s47, s46
	s_addc_u32 s47, 0, s54
	s_add_u32 s46, s46, s53
	s_mul_i32 s51, s43, s51
	s_addc_u32 s46, s47, s52
	s_addc_u32 s47, s50, 0
	s_add_u32 s46, s46, s51
	s_addc_u32 s47, 0, s47
	v_add_co_u32 v0, s46, v0, s46
	s_delay_alu instid0(VALU_DEP_1) | instskip(SKIP_1) | instid1(VALU_DEP_1)
	s_cmp_lg_u32 s46, 0
	s_addc_u32 s43, s43, s47
	v_readfirstlane_b32 s46, v0
	s_mul_i32 s50, s22, s43
	s_mul_hi_u32 s47, s22, s43
	s_mul_hi_u32 s51, s23, s43
	s_mul_i32 s43, s23, s43
	s_mul_hi_u32 s52, s22, s46
	s_mul_hi_u32 s53, s23, s46
	s_mul_i32 s46, s23, s46
	s_add_u32 s50, s52, s50
	s_addc_u32 s47, 0, s47
	s_add_u32 s46, s50, s46
	s_addc_u32 s46, s47, s53
	s_addc_u32 s47, s51, 0
	s_add_u32 s46, s46, s43
	s_addc_u32 s47, 0, s47
	s_mul_hi_u32 s43, s44, s46
	s_mul_i32 s51, s44, s47
	s_mul_i32 s52, s44, s46
	s_add_i32 s43, s43, s51
	v_sub_co_u32 v0, s51, s22, s52
	s_mul_i32 s50, s45, s46
	s_delay_alu instid0(SALU_CYCLE_1) | instskip(NEXT) | instid1(VALU_DEP_1)
	s_add_i32 s43, s43, s50
	v_sub_co_u32 v1, s52, v0, s44
	s_sub_i32 s50, s23, s43
	s_cmp_lg_u32 s51, 0
	s_subb_u32 s50, s50, s45
	s_cmp_lg_u32 s52, 0
	v_readfirstlane_b32 s52, v1
	s_subb_u32 s50, s50, 0
	s_delay_alu instid0(SALU_CYCLE_1) | instskip(SKIP_1) | instid1(VALU_DEP_1)
	s_cmp_ge_u32 s50, s45
	s_cselect_b32 s53, -1, 0
	s_cmp_ge_u32 s52, s44
	s_cselect_b32 s52, -1, 0
	s_cmp_eq_u32 s50, s45
	s_cselect_b32 s50, s52, s53
	s_add_u32 s52, s46, 1
	s_addc_u32 s53, s47, 0
	s_add_u32 s54, s46, 2
	s_addc_u32 s55, s47, 0
	s_cmp_lg_u32 s50, 0
	s_cselect_b32 s50, s54, s52
	s_cselect_b32 s52, s55, s53
	s_cmp_lg_u32 s51, 0
	v_readfirstlane_b32 s51, v0
	s_subb_u32 s43, s23, s43
	s_delay_alu instid0(SALU_CYCLE_1) | instskip(SKIP_1) | instid1(VALU_DEP_1)
	s_cmp_ge_u32 s43, s45
	s_cselect_b32 s53, -1, 0
	s_cmp_ge_u32 s51, s44
	s_cselect_b32 s51, -1, 0
	s_cmp_eq_u32 s43, s45
	s_cselect_b32 s43, s51, s53
	s_delay_alu instid0(SALU_CYCLE_1)
	s_cmp_lg_u32 s43, 0
	s_mov_b32 s43, 0
	s_cselect_b32 s47, s52, s47
	s_cselect_b32 s46, s50, s46
.LBB0_6:                                ;   in Loop: Header=BB0_4 Depth=1
	s_and_not1_b32 vcc_lo, exec_lo, s43
	s_cbranch_vccnz .LBB0_8
; %bb.7:                                ;   in Loop: Header=BB0_4 Depth=1
	v_cvt_f32_u32_e32 v0, s44
	s_sub_i32 s46, 0, s44
	s_waitcnt_depctr 0xfff
	v_rcp_iflag_f32_e32 v0, v0
	s_waitcnt_depctr 0xfff
	v_mul_f32_e32 v0, 0x4f7ffffe, v0
	s_delay_alu instid0(VALU_DEP_1) | instskip(NEXT) | instid1(VALU_DEP_1)
	v_cvt_u32_f32_e32 v0, v0
	v_readfirstlane_b32 s43, v0
	s_delay_alu instid0(VALU_DEP_1) | instskip(NEXT) | instid1(SALU_CYCLE_1)
	s_mul_i32 s46, s46, s43
	s_mul_hi_u32 s46, s43, s46
	s_delay_alu instid0(SALU_CYCLE_1) | instskip(NEXT) | instid1(SALU_CYCLE_1)
	s_add_i32 s43, s43, s46
	s_mul_hi_u32 s43, s22, s43
	s_delay_alu instid0(SALU_CYCLE_1) | instskip(SKIP_2) | instid1(SALU_CYCLE_1)
	s_mul_i32 s46, s43, s44
	s_add_i32 s47, s43, 1
	s_sub_i32 s46, s22, s46
	s_sub_i32 s50, s46, s44
	s_cmp_ge_u32 s46, s44
	s_cselect_b32 s43, s47, s43
	s_cselect_b32 s46, s50, s46
	s_add_i32 s47, s43, 1
	s_cmp_ge_u32 s46, s44
	s_cselect_b32 s46, s47, s43
	s_mov_b32 s47, s42
.LBB0_8:                                ;   in Loop: Header=BB0_4 Depth=1
	s_load_b64 s[50:51], s[38:39], 0x0
	s_load_b64 s[52:53], s[36:37], 0x0
	s_mul_i32 s31, s44, s31
	s_mul_hi_u32 s43, s44, s30
	s_mul_i32 s54, s45, s30
	s_mul_i32 s45, s46, s45
	s_mul_hi_u32 s55, s46, s44
	s_mul_i32 s56, s47, s44
	s_add_i32 s31, s43, s31
	s_add_i32 s43, s55, s45
	s_mul_i32 s57, s46, s44
	s_add_i32 s31, s31, s54
	s_add_i32 s43, s43, s56
	s_sub_u32 s22, s22, s57
	s_subb_u32 s23, s23, s43
	s_mul_i32 s30, s44, s30
	s_waitcnt lgkmcnt(0)
	s_mul_i32 s43, s50, s23
	s_mul_hi_u32 s45, s50, s22
	s_mul_i32 s51, s51, s22
	s_add_i32 s43, s45, s43
	s_mul_i32 s50, s50, s22
	s_mul_i32 s23, s52, s23
	s_mul_hi_u32 s45, s52, s22
	s_add_i32 s43, s43, s51
	s_add_u32 s48, s50, s48
	s_addc_u32 s49, s43, s49
	s_add_i32 s23, s45, s23
	s_mul_i32 s43, s53, s22
	s_mul_i32 s22, s52, s22
	s_add_i32 s23, s23, s43
	s_add_u32 s20, s22, s20
	s_addc_u32 s21, s23, s21
	s_add_u32 s40, s40, 1
	s_addc_u32 s41, s41, 0
	s_add_u32 s36, s36, 8
	v_cmp_ge_u64_e64 s22, s[40:41], s[10:11]
	s_addc_u32 s37, s37, 0
	s_add_u32 s38, s38, 8
	s_addc_u32 s39, s39, 0
	s_add_u32 s16, s16, 8
	s_addc_u32 s17, s17, 0
	s_and_b32 vcc_lo, exec_lo, s22
	s_cbranch_vccnz .LBB0_10
; %bb.9:                                ;   in Loop: Header=BB0_4 Depth=1
	s_mov_b64 s[22:23], s[46:47]
	s_branch .LBB0_4
.LBB0_10:
	v_cmp_lt_u64_e64 s16, s[28:29], s[30:31]
	s_mov_b64 s[22:23], 0
	s_delay_alu instid0(VALU_DEP_1)
	s_and_b32 vcc_lo, exec_lo, s16
	s_cbranch_vccnz .LBB0_12
; %bb.11:
	v_cvt_f32_u32_e32 v0, s30
	s_sub_i32 s17, 0, s30
	s_delay_alu instid0(VALU_DEP_1) | instskip(SKIP_2) | instid1(VALU_DEP_1)
	v_rcp_iflag_f32_e32 v0, v0
	s_waitcnt_depctr 0xfff
	v_mul_f32_e32 v0, 0x4f7ffffe, v0
	v_cvt_u32_f32_e32 v0, v0
	s_delay_alu instid0(VALU_DEP_1) | instskip(NEXT) | instid1(VALU_DEP_1)
	v_readfirstlane_b32 s16, v0
	s_mul_i32 s17, s17, s16
	s_delay_alu instid0(SALU_CYCLE_1) | instskip(NEXT) | instid1(SALU_CYCLE_1)
	s_mul_hi_u32 s17, s16, s17
	s_add_i32 s16, s16, s17
	s_delay_alu instid0(SALU_CYCLE_1) | instskip(NEXT) | instid1(SALU_CYCLE_1)
	s_mul_hi_u32 s16, s28, s16
	s_mul_i32 s17, s16, s30
	s_add_i32 s22, s16, 1
	s_sub_i32 s17, s28, s17
	s_delay_alu instid0(SALU_CYCLE_1)
	s_sub_i32 s23, s17, s30
	s_cmp_ge_u32 s17, s30
	s_cselect_b32 s16, s22, s16
	s_cselect_b32 s17, s23, s17
	s_add_i32 s22, s16, 1
	s_cmp_ge_u32 s17, s30
	s_cselect_b32 s22, s22, s16
.LBB0_12:
	v_mul_u32_u24_e32 v0, 0x2493, v2
	s_lshl_b64 s[16:17], s[10:11], 3
	v_mov_b32_e32 v7, 0
	s_add_u32 s10, s18, s16
	s_addc_u32 s11, s19, s17
	v_lshrrev_b32_e32 v186, 16, v0
	s_load_b64 s[10:11], s[10:11], 0x0
	scratch_store_b32 off, v2, off offset:168 ; 4-byte Folded Spill
	v_mov_b32_e32 v8, 0
	v_mul_lo_u16 v0, v186, 7
	s_delay_alu instid0(VALU_DEP_1) | instskip(NEXT) | instid1(VALU_DEP_1)
	v_sub_nc_u16 v0, v2, v0
	v_and_b32_e32 v255, 0xffff, v0
	s_delay_alu instid0(VALU_DEP_1)
	v_mad_u64_u32 v[69:70], null, s14, v255, 0
	s_waitcnt lgkmcnt(0)
	s_mul_i32 s10, s10, s22
	v_add_co_u32 v113, s11, s33, v255
	s_add_u32 s10, s10, s48
	v_add_co_ci_u32_e64 v114, null, s13, 0, s11
	s_add_u32 s30, s26, s16
	s_addc_u32 s31, s27, s17
	v_mov_b32_e32 v1, v70
	s_add_u32 s16, s33, 7
	s_addc_u32 s17, s13, 0
	v_cmp_gt_u64_e32 vcc_lo, s[24:25], v[113:114]
	v_cmp_le_u64_e64 s11, s[16:17], s[24:25]
	v_mad_u64_u32 v[2:3], null, s15, v255, v[1:2]
	v_mov_b32_e32 v3, v7
	v_dual_mov_b32 v1, v7 :: v_dual_mov_b32 v2, v8
	v_mov_b32_e32 v4, v8
	s_or_b32 s23, s11, vcc_lo
	s_delay_alu instid0(SALU_CYCLE_1)
	s_and_saveexec_b32 s11, s23
	s_cbranch_execz .LBB0_14
; %bb.13:
	v_mul_lo_u32 v0, s12, v186
	v_mov_b32_e32 v2, 0
	s_delay_alu instid0(VALU_DEP_2) | instskip(NEXT) | instid1(VALU_DEP_1)
	v_add3_u32 v1, s10, v69, v0
	v_lshlrev_b64 v[1:2], 4, v[1:2]
	s_delay_alu instid0(VALU_DEP_1) | instskip(NEXT) | instid1(VALU_DEP_2)
	v_add_co_u32 v1, vcc_lo, s0, v1
	v_add_co_ci_u32_e32 v2, vcc_lo, s1, v2, vcc_lo
	global_load_b128 v[1:4], v[1:2], off
.LBB0_14:
	s_or_b32 exec_lo, exec_lo, s11
	v_dual_mov_b32 v5, v7 :: v_dual_mov_b32 v6, v8
	s_and_saveexec_b32 s11, s23
	s_cbranch_execz .LBB0_16
; %bb.15:
	v_add_nc_u32_e32 v0, 17, v186
	v_mov_b32_e32 v6, 0
	s_delay_alu instid0(VALU_DEP_2) | instskip(NEXT) | instid1(VALU_DEP_1)
	v_mul_lo_u32 v0, s12, v0
	v_add3_u32 v5, s10, v69, v0
	s_delay_alu instid0(VALU_DEP_1) | instskip(NEXT) | instid1(VALU_DEP_1)
	v_lshlrev_b64 v[5:6], 4, v[5:6]
	v_add_co_u32 v5, vcc_lo, s0, v5
	s_delay_alu instid0(VALU_DEP_2)
	v_add_co_ci_u32_e32 v6, vcc_lo, s1, v6, vcc_lo
	global_load_b128 v[5:8], v[5:6], off
.LBB0_16:
	s_or_b32 exec_lo, exec_lo, s11
	v_mov_b32_e32 v15, 0
	v_mov_b32_e32 v16, 0
	s_delay_alu instid0(VALU_DEP_2) | instskip(NEXT) | instid1(VALU_DEP_2)
	v_mov_b32_e32 v11, v15
	v_dual_mov_b32 v9, v15 :: v_dual_mov_b32 v10, v16
	v_mov_b32_e32 v12, v16
	s_and_saveexec_b32 s11, s23
	s_cbranch_execz .LBB0_18
; %bb.17:
	v_add_nc_u32_e32 v0, 34, v186
	v_mov_b32_e32 v10, 0
	s_delay_alu instid0(VALU_DEP_2) | instskip(NEXT) | instid1(VALU_DEP_1)
	v_mul_lo_u32 v0, s12, v0
	v_add3_u32 v9, s10, v69, v0
	s_delay_alu instid0(VALU_DEP_1) | instskip(NEXT) | instid1(VALU_DEP_1)
	v_lshlrev_b64 v[9:10], 4, v[9:10]
	v_add_co_u32 v9, vcc_lo, s0, v9
	s_delay_alu instid0(VALU_DEP_2)
	v_add_co_ci_u32_e32 v10, vcc_lo, s1, v10, vcc_lo
	global_load_b128 v[9:12], v[9:10], off
.LBB0_18:
	s_or_b32 exec_lo, exec_lo, s11
	v_dual_mov_b32 v13, v15 :: v_dual_mov_b32 v14, v16
	s_and_saveexec_b32 s11, s23
	s_cbranch_execz .LBB0_20
; %bb.19:
	v_add_nc_u32_e32 v0, 51, v186
	v_mov_b32_e32 v14, 0
	s_delay_alu instid0(VALU_DEP_2) | instskip(NEXT) | instid1(VALU_DEP_1)
	v_mul_lo_u32 v0, s12, v0
	v_add3_u32 v13, s10, v69, v0
	s_delay_alu instid0(VALU_DEP_1) | instskip(NEXT) | instid1(VALU_DEP_1)
	v_lshlrev_b64 v[13:14], 4, v[13:14]
	v_add_co_u32 v13, vcc_lo, s0, v13
	s_delay_alu instid0(VALU_DEP_2)
	v_add_co_ci_u32_e32 v14, vcc_lo, s1, v14, vcc_lo
	global_load_b128 v[13:16], v[13:14], off
.LBB0_20:
	s_or_b32 exec_lo, exec_lo, s11
	v_mov_b32_e32 v23, 0
	v_mov_b32_e32 v24, 0
	s_delay_alu instid0(VALU_DEP_2) | instskip(NEXT) | instid1(VALU_DEP_2)
	v_mov_b32_e32 v19, v23
	v_dual_mov_b32 v17, v23 :: v_dual_mov_b32 v18, v24
	v_mov_b32_e32 v20, v24
	s_and_saveexec_b32 s11, s23
	s_cbranch_execz .LBB0_22
; %bb.21:
	v_add_nc_u32_e32 v0, 0x44, v186
	v_mov_b32_e32 v18, 0
	s_delay_alu instid0(VALU_DEP_2) | instskip(NEXT) | instid1(VALU_DEP_1)
	v_mul_lo_u32 v0, s12, v0
	v_add3_u32 v17, s10, v69, v0
	s_delay_alu instid0(VALU_DEP_1) | instskip(NEXT) | instid1(VALU_DEP_1)
	v_lshlrev_b64 v[17:18], 4, v[17:18]
	v_add_co_u32 v17, vcc_lo, s0, v17
	s_delay_alu instid0(VALU_DEP_2)
	v_add_co_ci_u32_e32 v18, vcc_lo, s1, v18, vcc_lo
	global_load_b128 v[17:20], v[17:18], off
.LBB0_22:
	;; [unrolled: 39-line block ×3, first 2 shown]
	s_or_b32 exec_lo, exec_lo, s11
	v_dual_mov_b32 v29, v31 :: v_dual_mov_b32 v30, v32
	s_and_saveexec_b32 s11, s23
	s_cbranch_execz .LBB0_28
; %bb.27:
	v_add_nc_u32_e32 v0, 0x77, v186
	v_mov_b32_e32 v30, 0
	s_delay_alu instid0(VALU_DEP_2) | instskip(NEXT) | instid1(VALU_DEP_1)
	v_mul_lo_u32 v0, s12, v0
	v_add3_u32 v29, s10, v69, v0
	s_delay_alu instid0(VALU_DEP_1) | instskip(NEXT) | instid1(VALU_DEP_1)
	v_lshlrev_b64 v[29:30], 4, v[29:30]
	v_add_co_u32 v29, vcc_lo, s0, v29
	s_delay_alu instid0(VALU_DEP_2)
	v_add_co_ci_u32_e32 v30, vcc_lo, s1, v30, vcc_lo
	global_load_b128 v[29:32], v[29:30], off
.LBB0_28:
	s_or_b32 exec_lo, exec_lo, s11
	v_mov_b32_e32 v35, 0
	v_mov_b32_e32 v36, 0
	s_delay_alu instid0(VALU_DEP_1)
	v_dual_mov_b32 v40, v36 :: v_dual_mov_b32 v39, v35
	v_dual_mov_b32 v38, v36 :: v_dual_mov_b32 v37, v35
	s_and_saveexec_b32 s11, s23
	s_cbranch_execz .LBB0_30
; %bb.29:
	v_add_nc_u32_e32 v0, 0x88, v186
	v_mov_b32_e32 v34, 0
	s_delay_alu instid0(VALU_DEP_2) | instskip(NEXT) | instid1(VALU_DEP_1)
	v_mul_lo_u32 v0, s12, v0
	v_add3_u32 v33, s10, v69, v0
	s_delay_alu instid0(VALU_DEP_1) | instskip(NEXT) | instid1(VALU_DEP_1)
	v_lshlrev_b64 v[33:34], 4, v[33:34]
	v_add_co_u32 v33, vcc_lo, s0, v33
	s_delay_alu instid0(VALU_DEP_2)
	v_add_co_ci_u32_e32 v34, vcc_lo, s1, v34, vcc_lo
	global_load_b128 v[37:40], v[33:34], off
.LBB0_30:
	s_or_b32 exec_lo, exec_lo, s11
	v_dual_mov_b32 v33, v35 :: v_dual_mov_b32 v34, v36
	s_and_saveexec_b32 s11, s23
	s_cbranch_execz .LBB0_32
; %bb.31:
	v_add_nc_u32_e32 v0, 0x99, v186
	v_mov_b32_e32 v34, 0
	s_delay_alu instid0(VALU_DEP_2) | instskip(NEXT) | instid1(VALU_DEP_1)
	v_mul_lo_u32 v0, s12, v0
	v_add3_u32 v33, s10, v69, v0
	s_delay_alu instid0(VALU_DEP_1) | instskip(NEXT) | instid1(VALU_DEP_1)
	v_lshlrev_b64 v[33:34], 4, v[33:34]
	v_add_co_u32 v33, vcc_lo, s0, v33
	s_delay_alu instid0(VALU_DEP_2)
	v_add_co_ci_u32_e32 v34, vcc_lo, s1, v34, vcc_lo
	global_load_b128 v[33:36], v[33:34], off
.LBB0_32:
	s_or_b32 exec_lo, exec_lo, s11
	v_mov_b32_e32 v43, 0
	v_mov_b32_e32 v44, 0
	s_delay_alu instid0(VALU_DEP_1)
	v_dual_mov_b32 v48, v44 :: v_dual_mov_b32 v47, v43
	v_dual_mov_b32 v46, v44 :: v_dual_mov_b32 v45, v43
	s_and_saveexec_b32 s11, s23
	s_cbranch_execz .LBB0_34
; %bb.33:
	v_add_nc_u32_e32 v0, 0xaa, v186
	v_mov_b32_e32 v42, 0
	s_delay_alu instid0(VALU_DEP_2) | instskip(NEXT) | instid1(VALU_DEP_1)
	v_mul_lo_u32 v0, s12, v0
	v_add3_u32 v41, s10, v69, v0
	s_delay_alu instid0(VALU_DEP_1) | instskip(NEXT) | instid1(VALU_DEP_1)
	v_lshlrev_b64 v[41:42], 4, v[41:42]
	v_add_co_u32 v41, vcc_lo, s0, v41
	s_delay_alu instid0(VALU_DEP_2)
	v_add_co_ci_u32_e32 v42, vcc_lo, s1, v42, vcc_lo
	global_load_b128 v[45:48], v[41:42], off
.LBB0_34:
	s_or_b32 exec_lo, exec_lo, s11
	v_dual_mov_b32 v41, v43 :: v_dual_mov_b32 v42, v44
	s_and_saveexec_b32 s11, s23
	s_cbranch_execz .LBB0_36
; %bb.35:
	v_add_nc_u32_e32 v0, 0xbb, v186
	v_mov_b32_e32 v42, 0
	s_delay_alu instid0(VALU_DEP_2) | instskip(NEXT) | instid1(VALU_DEP_1)
	v_mul_lo_u32 v0, s12, v0
	v_add3_u32 v41, s10, v69, v0
	s_delay_alu instid0(VALU_DEP_1) | instskip(NEXT) | instid1(VALU_DEP_1)
	v_lshlrev_b64 v[41:42], 4, v[41:42]
	v_add_co_u32 v41, vcc_lo, s0, v41
	s_delay_alu instid0(VALU_DEP_2)
	v_add_co_ci_u32_e32 v42, vcc_lo, s1, v42, vcc_lo
	global_load_b128 v[41:44], v[41:42], off
.LBB0_36:
	s_or_b32 exec_lo, exec_lo, s11
	v_mov_b32_e32 v51, 0
	v_mov_b32_e32 v52, 0
	s_delay_alu instid0(VALU_DEP_1)
	v_dual_mov_b32 v56, v52 :: v_dual_mov_b32 v55, v51
	v_dual_mov_b32 v54, v52 :: v_dual_mov_b32 v53, v51
	s_and_saveexec_b32 s11, s23
	s_cbranch_execz .LBB0_38
; %bb.37:
	v_add_nc_u32_e32 v0, 0xcc, v186
	v_mov_b32_e32 v50, 0
	s_delay_alu instid0(VALU_DEP_2) | instskip(NEXT) | instid1(VALU_DEP_1)
	v_mul_lo_u32 v0, s12, v0
	v_add3_u32 v49, s10, v69, v0
	s_delay_alu instid0(VALU_DEP_1) | instskip(NEXT) | instid1(VALU_DEP_1)
	v_lshlrev_b64 v[49:50], 4, v[49:50]
	v_add_co_u32 v49, vcc_lo, s0, v49
	s_delay_alu instid0(VALU_DEP_2)
	v_add_co_ci_u32_e32 v50, vcc_lo, s1, v50, vcc_lo
	global_load_b128 v[53:56], v[49:50], off
.LBB0_38:
	s_or_b32 exec_lo, exec_lo, s11
	v_dual_mov_b32 v49, v51 :: v_dual_mov_b32 v50, v52
	s_and_saveexec_b32 s11, s23
	s_cbranch_execz .LBB0_40
; %bb.39:
	v_add_nc_u32_e32 v0, 0xdd, v186
	v_mov_b32_e32 v50, 0
	s_delay_alu instid0(VALU_DEP_2) | instskip(NEXT) | instid1(VALU_DEP_1)
	v_mul_lo_u32 v0, s12, v0
	v_add3_u32 v49, s10, v69, v0
	s_delay_alu instid0(VALU_DEP_1) | instskip(NEXT) | instid1(VALU_DEP_1)
	v_lshlrev_b64 v[49:50], 4, v[49:50]
	v_add_co_u32 v49, vcc_lo, s0, v49
	s_delay_alu instid0(VALU_DEP_2)
	v_add_co_ci_u32_e32 v50, vcc_lo, s1, v50, vcc_lo
	global_load_b128 v[49:52], v[49:50], off
.LBB0_40:
	s_or_b32 exec_lo, exec_lo, s11
	v_mov_b32_e32 v59, 0
	v_mov_b32_e32 v60, 0
	s_delay_alu instid0(VALU_DEP_1)
	v_dual_mov_b32 v64, v60 :: v_dual_mov_b32 v63, v59
	v_dual_mov_b32 v62, v60 :: v_dual_mov_b32 v61, v59
	s_and_saveexec_b32 s11, s23
	s_cbranch_execz .LBB0_42
; %bb.41:
	v_add_nc_u32_e32 v0, 0xee, v186
	v_mov_b32_e32 v58, 0
	s_delay_alu instid0(VALU_DEP_2) | instskip(NEXT) | instid1(VALU_DEP_1)
	v_mul_lo_u32 v0, s12, v0
	v_add3_u32 v57, s10, v69, v0
	s_delay_alu instid0(VALU_DEP_1) | instskip(NEXT) | instid1(VALU_DEP_1)
	v_lshlrev_b64 v[57:58], 4, v[57:58]
	v_add_co_u32 v57, vcc_lo, s0, v57
	s_delay_alu instid0(VALU_DEP_2)
	v_add_co_ci_u32_e32 v58, vcc_lo, s1, v58, vcc_lo
	global_load_b128 v[61:64], v[57:58], off
.LBB0_42:
	s_or_b32 exec_lo, exec_lo, s11
	v_dual_mov_b32 v57, v59 :: v_dual_mov_b32 v58, v60
	s_and_saveexec_b32 s11, s23
	s_cbranch_execz .LBB0_44
; %bb.43:
	v_add_nc_u32_e32 v0, 0xff, v186
	v_mov_b32_e32 v58, 0
	s_delay_alu instid0(VALU_DEP_2) | instskip(NEXT) | instid1(VALU_DEP_1)
	v_mul_lo_u32 v0, s12, v0
	v_add3_u32 v57, s10, v69, v0
	s_delay_alu instid0(VALU_DEP_1) | instskip(NEXT) | instid1(VALU_DEP_1)
	v_lshlrev_b64 v[57:58], 4, v[57:58]
	v_add_co_u32 v57, vcc_lo, s0, v57
	s_delay_alu instid0(VALU_DEP_2)
	v_add_co_ci_u32_e32 v58, vcc_lo, s1, v58, vcc_lo
	global_load_b128 v[57:60], v[57:58], off
.LBB0_44:
	s_or_b32 exec_lo, exec_lo, s11
	v_mov_b32_e32 v67, 0
	v_mov_b32_e32 v68, 0
	s_delay_alu instid0(VALU_DEP_1)
	v_dual_mov_b32 v65, v67 :: v_dual_mov_b32 v66, v68
	s_and_saveexec_b32 s11, s23
	s_cbranch_execz .LBB0_46
; %bb.45:
	v_add_nc_u32_e32 v0, 0x110, v186
	v_mov_b32_e32 v66, 0
	s_delay_alu instid0(VALU_DEP_2) | instskip(NEXT) | instid1(VALU_DEP_1)
	v_mul_lo_u32 v0, s12, v0
	v_add3_u32 v65, s10, v69, v0
	s_delay_alu instid0(VALU_DEP_1) | instskip(NEXT) | instid1(VALU_DEP_1)
	v_lshlrev_b64 v[65:66], 4, v[65:66]
	v_add_co_u32 v65, vcc_lo, s0, v65
	s_delay_alu instid0(VALU_DEP_2)
	v_add_co_ci_u32_e32 v66, vcc_lo, s1, v66, vcc_lo
	global_load_b128 v[65:68], v[65:66], off
.LBB0_46:
	s_or_b32 exec_lo, exec_lo, s11
	s_waitcnt vmcnt(0)
	v_add_f64 v[69:70], v[1:2], v[5:6]
	v_add_f64 v[71:72], v[3:4], v[7:8]
	;; [unrolled: 1-line block ×3, first 2 shown]
	v_add_f64 v[126:127], v[37:38], -v[33:34]
	v_add_f64 v[128:129], v[39:40], -v[35:36]
	v_add_f64 v[130:131], v[29:30], -v[45:46]
	v_add_f64 v[132:133], v[31:32], -v[47:48]
	v_add_f64 v[136:137], v[27:28], -v[43:44]
	v_add_f64 v[138:139], v[21:22], -v[53:54]
	v_add_f64 v[144:145], v[23:24], -v[55:56]
	v_add_f64 v[154:155], v[17:18], -v[49:50]
	v_add_f64 v[164:165], v[19:20], -v[51:52]
	v_add_f64 v[134:135], v[25:26], -v[41:42]
	v_add_f64 v[170:171], v[13:14], -v[61:62]
	v_add_f64 v[172:173], v[15:16], -v[63:64]
	v_add_f64 v[182:183], v[9:10], -v[57:58]
	v_add_f64 v[184:185], v[11:12], -v[59:60]
	s_mov_b32 s44, 0x5d8e7cdc
	s_mov_b32 s48, 0x2a9d6da3
	;; [unrolled: 1-line block ×21, first 2 shown]
	v_add_f64 v[69:70], v[69:70], v[9:10]
	v_add_f64 v[71:72], v[71:72], v[11:12]
	s_mov_b32 s16, 0x6ed5f1bb
	s_mov_b32 s14, 0x910ea3b9
	s_mov_b32 s10, 0x7faef3
	s_mov_b32 s1, 0x3fedd6d0
	s_mov_b32 s13, 0x3fe7a5f6
	s_mov_b32 s19, 0x3fdc86fa
	s_mov_b32 s27, 0x3fb79ee6
	s_mov_b32 s25, 0xbfd183b1
	s_mov_b32 s17, 0xbfe348c8
	s_mov_b32 s15, 0xbfeb34fa
	s_mov_b32 s11, 0xbfef7484
	s_mov_b32 s63, 0x3fe0d888
	s_mov_b32 s62, s40
	s_mov_b32 s59, 0x3feec746
	v_mul_f64 v[111:112], v[138:139], s[62:63]
	s_mov_b32 s58, s36
	s_mov_b32 s51, 0x3feca52d
	v_mul_f64 v[114:115], v[136:137], s[58:59]
	v_mul_f64 v[116:117], v[134:135], s[58:59]
	s_mov_b32 s50, s56
	s_mov_b32 s55, 0x3fd71e95
	v_mul_f64 v[118:119], v[132:133], s[50:51]
	v_mul_f64 v[120:121], v[130:131], s[50:51]
	s_mov_b32 s54, s44
	v_mul_f64 v[140:141], v[184:185], s[38:39]
	v_mul_f64 v[122:123], v[128:129], s[54:55]
	v_mul_f64 v[124:125], v[126:127], s[54:55]
	s_mov_b32 s65, 0x3fc7851a
	s_mov_b32 s64, s42
	v_mul_f64 v[150:151], v[164:165], s[58:59]
	v_mul_f64 v[148:149], v[170:171], s[64:65]
	;; [unrolled: 1-line block ×3, first 2 shown]
	s_mov_b32 s53, 0x3fe58eea
	s_mov_b32 s52, s48
	v_mul_f64 v[160:161], v[136:137], s[44:45]
	v_mul_f64 v[156:157], v[144:145], s[52:53]
	v_add_f64 v[69:70], v[69:70], v[13:14]
	v_add_f64 v[71:72], v[71:72], v[15:16]
	v_mul_f64 v[158:159], v[138:139], s[52:53]
	v_mul_f64 v[162:163], v[134:135], s[44:45]
	;; [unrolled: 1-line block ×16, first 2 shown]
	s_mov_b32 s61, 0x3fe9895b
	s_mov_b32 s60, s38
	v_mul_f64 v[241:242], v[128:129], s[52:53]
	v_mul_f64 v[235:236], v[132:133], s[60:61]
	;; [unrolled: 1-line block ×10, first 2 shown]
	s_mov_b32 s29, 0x3fefdd0d
	s_mov_b32 s28, s46
	v_add_f64 v[69:70], v[69:70], v[17:18]
	v_add_f64 v[71:72], v[71:72], v[19:20]
	s_delay_alu instid0(VALU_DEP_2) | instskip(NEXT) | instid1(VALU_DEP_2)
	v_add_f64 v[69:70], v[69:70], v[21:22]
	v_add_f64 v[71:72], v[71:72], v[23:24]
	s_delay_alu instid0(VALU_DEP_2) | instskip(NEXT) | instid1(VALU_DEP_2)
	v_add_f64 v[69:70], v[69:70], v[25:26]
	v_add_f64 v[71:72], v[71:72], v[27:28]
	s_delay_alu instid0(VALU_DEP_2) | instskip(NEXT) | instid1(VALU_DEP_2)
	v_add_f64 v[69:70], v[69:70], v[29:30]
	v_add_f64 v[71:72], v[71:72], v[31:32]
	s_delay_alu instid0(VALU_DEP_2) | instskip(NEXT) | instid1(VALU_DEP_2)
	v_add_f64 v[73:74], v[69:70], v[37:38]
	v_add_f64 v[75:76], v[71:72], v[39:40]
	;; [unrolled: 1-line block ×15, first 2 shown]
	s_delay_alu instid0(VALU_DEP_4) | instskip(NEXT) | instid1(VALU_DEP_4)
	v_add_f64 v[37:38], v[37:38], v[41:42]
	v_add_f64 v[39:40], v[39:40], v[43:44]
	;; [unrolled: 1-line block ×4, first 2 shown]
	s_delay_alu instid0(VALU_DEP_4) | instskip(NEXT) | instid1(VALU_DEP_4)
	v_add_f64 v[21:22], v[37:38], v[53:54]
	v_add_f64 v[23:24], v[39:40], v[55:56]
	;; [unrolled: 1-line block ×4, first 2 shown]
	s_delay_alu instid0(VALU_DEP_4) | instskip(NEXT) | instid1(VALU_DEP_4)
	v_add_f64 v[17:18], v[21:22], v[49:50]
	v_add_f64 v[19:20], v[23:24], v[51:52]
	s_delay_alu instid0(VALU_DEP_2) | instskip(NEXT) | instid1(VALU_DEP_2)
	v_add_f64 v[13:14], v[17:18], v[61:62]
	v_add_f64 v[15:16], v[19:20], v[63:64]
	v_add_f64 v[19:20], v[5:6], -v[65:66]
	v_add_f64 v[17:18], v[7:8], v[67:68]
	s_delay_alu instid0(VALU_DEP_4) | instskip(NEXT) | instid1(VALU_DEP_4)
	v_add_f64 v[9:10], v[13:14], v[57:58]
	v_add_f64 v[11:12], v[15:16], v[59:60]
	v_add_f64 v[13:14], v[7:8], -v[67:68]
	v_add_f64 v[15:16], v[5:6], v[65:66]
	v_mul_f64 v[81:82], v[19:20], s[36:37]
	v_mul_f64 v[83:84], v[19:20], s[38:39]
	;; [unrolled: 1-line block ×3, first 2 shown]
	v_add_f64 v[178:179], v[9:10], v[65:66]
	v_add_f64 v[180:181], v[11:12], v[67:68]
	v_mul_f64 v[9:10], v[13:14], s[44:45]
	v_mul_f64 v[11:12], v[13:14], s[48:49]
	;; [unrolled: 1-line block ×8, first 2 shown]
	v_fma_f64 v[101:102], v[17:18], s[24:25], -v[81:82]
	v_fma_f64 v[81:82], v[17:18], s[24:25], v[81:82]
	v_fma_f64 v[103:104], v[17:18], s[16:17], -v[83:84]
	v_fma_f64 v[83:84], v[17:18], s[16:17], v[83:84]
	;; [unrolled: 2-line block ×3, first 2 shown]
	v_fma_f64 v[55:56], v[15:16], s[0:1], v[9:10]
	v_fma_f64 v[9:10], v[15:16], s[0:1], -v[9:10]
	v_fma_f64 v[57:58], v[15:16], s[12:13], v[11:12]
	v_fma_f64 v[11:12], v[15:16], s[12:13], -v[11:12]
	;; [unrolled: 2-line block ×8, first 2 shown]
	v_mul_f64 v[15:16], v[19:20], s[44:45]
	v_mul_f64 v[49:50], v[19:20], s[48:49]
	;; [unrolled: 1-line block ×5, first 2 shown]
	v_add_f64 v[189:190], v[3:4], v[101:102]
	v_add_f64 v[193:194], v[3:4], v[103:104]
	;; [unrolled: 1-line block ×5, first 2 shown]
	v_mul_f64 v[85:86], v[172:173], s[38:39]
	v_mul_f64 v[105:106], v[164:165], s[42:43]
	v_add_f64 v[5:6], v[1:2], v[9:10]
	v_add_f64 v[9:10], v[1:2], v[57:58]
	v_mul_f64 v[57:58], v[132:133], s[44:45]
	v_add_f64 v[142:143], v[1:2], v[59:60]
	v_mul_f64 v[59:60], v[126:127], s[38:39]
	v_add_f64 v[191:192], v[1:2], v[67:68]
	v_add_f64 v[195:196], v[1:2], v[73:74]
	;; [unrolled: 1-line block ×5, first 2 shown]
	v_mul_f64 v[67:68], v[170:171], s[38:39]
	v_fma_f64 v[87:88], v[17:18], s[0:1], -v[15:16]
	v_fma_f64 v[15:16], v[17:18], s[0:1], v[15:16]
	v_fma_f64 v[91:92], v[17:18], s[12:13], v[49:50]
	;; [unrolled: 1-line block ×3, first 2 shown]
	v_fma_f64 v[89:90], v[17:18], s[12:13], -v[49:50]
	v_fma_f64 v[99:100], v[17:18], s[26:27], v[53:54]
	v_fma_f64 v[93:94], v[17:18], s[18:19], -v[51:52]
	v_fma_f64 v[97:98], v[17:18], s[26:27], -v[53:54]
	v_fma_f64 v[107:108], v[17:18], s[10:11], -v[19:20]
	v_fma_f64 v[17:18], v[17:18], s[10:11], v[19:20]
	v_add_f64 v[19:20], v[1:2], v[55:56]
	v_mul_f64 v[49:50], v[144:145], s[42:43]
	v_mul_f64 v[51:52], v[138:139], s[42:43]
	;; [unrolled: 1-line block ×4, first 2 shown]
	scratch_store_b64 off, v[5:6], off      ; 8-byte Folded Spill
	v_add_f64 v[87:88], v[3:4], v[87:88]
	v_add_f64 v[5:6], v[3:4], v[15:16]
	;; [unrolled: 1-line block ×8, first 2 shown]
	v_mul_f64 v[97:98], v[184:185], s[46:47]
	v_fma_f64 v[13:14], v[41:42], s[16:17], v[85:86]
	v_mul_f64 v[107:108], v[154:155], s[42:43]
	scratch_store_b64 off, v[5:6], off offset:8 ; 8-byte Folded Spill
	v_add_f64 v[5:6], v[1:2], v[11:12]
	scratch_store_b64 off, v[5:6], off offset:24 ; 8-byte Folded Spill
	v_add_f64 v[5:6], v[3:4], v[91:92]
	v_add_f64 v[91:92], v[3:4], v[17:18]
	scratch_store_b64 off, v[5:6], off offset:16 ; 8-byte Folded Spill
	v_add_f64 v[5:6], v[1:2], v[21:22]
	v_add_f64 v[21:22], v[1:2], v[61:62]
	v_mul_f64 v[61:62], v[128:129], s[38:39]
	scratch_store_b64 off, v[5:6], off offset:144 ; 8-byte Folded Spill
	v_add_f64 v[5:6], v[3:4], v[95:96]
	v_add_f64 v[95:96], v[1:2], v[65:66]
	v_mul_f64 v[65:66], v[144:145], s[62:63]
	;; [unrolled: 4-line block ×3, first 2 shown]
	v_mul_f64 v[63:64], v[130:131], s[44:45]
	scratch_store_b64 off, v[5:6], off offset:160 ; 8-byte Folded Spill
	v_add_f64 v[5:6], v[3:4], v[99:100]
	v_mul_f64 v[3:4], v[182:183], s[48:49]
	scratch_store_b64 off, v[0:1], off offset:32 ; 8-byte Folded Spill
	v_fma_f64 v[1:2], v[45:46], s[12:13], v[0:1]
	v_mul_f64 v[99:100], v[182:183], s[46:47]
	scratch_store_b64 off, v[5:6], off offset:152 ; 8-byte Folded Spill
	v_mul_f64 v[5:6], v[172:173], s[56:57]
	scratch_store_b64 off, v[3:4], off offset:40 ; 8-byte Folded Spill
	v_add_f64 v[1:2], v[1:2], v[19:20]
	v_fma_f64 v[3:4], v[47:48], s[12:13], -v[3:4]
	v_fma_f64 v[19:20], v[47:48], s[10:11], -v[217:218]
	scratch_store_b64 off, v[5:6], off offset:48 ; 8-byte Folded Spill
	v_fma_f64 v[11:12], v[41:42], s[18:19], v[5:6]
	v_mul_f64 v[5:6], v[170:171], s[56:57]
	v_add_f64 v[3:4], v[3:4], v[87:88]
	v_mul_f64 v[87:88], v[126:127], s[42:43]
	v_add_f64 v[19:20], v[19:20], v[187:188]
	v_fma_f64 v[187:188], v[41:42], s[12:13], v[249:250]
	v_add_f64 v[1:2], v[11:12], v[1:2]
	scratch_store_b64 off, v[5:6], off offset:56 ; 8-byte Folded Spill
	v_fma_f64 v[11:12], v[43:44], s[18:19], -v[5:6]
	v_mul_f64 v[5:6], v[164:165], s[46:47]
	s_delay_alu instid0(VALU_DEP_2) | instskip(SKIP_3) | instid1(VALU_DEP_2)
	v_add_f64 v[3:4], v[11:12], v[3:4]
	scratch_store_b64 off, v[5:6], off offset:64 ; 8-byte Folded Spill
	v_fma_f64 v[11:12], v[37:38], s[26:27], v[5:6]
	v_mul_f64 v[5:6], v[154:155], s[46:47]
	v_add_f64 v[1:2], v[11:12], v[1:2]
	scratch_store_b64 off, v[5:6], off offset:72 ; 8-byte Folded Spill
	v_fma_f64 v[11:12], v[39:40], s[26:27], -v[5:6]
	v_mul_f64 v[5:6], v[144:145], s[36:37]
	s_delay_alu instid0(VALU_DEP_2) | instskip(SKIP_3) | instid1(VALU_DEP_2)
	v_add_f64 v[3:4], v[11:12], v[3:4]
	scratch_store_b64 off, v[5:6], off offset:80 ; 8-byte Folded Spill
	v_fma_f64 v[11:12], v[29:30], s[24:25], v[5:6]
	v_mul_f64 v[5:6], v[138:139], s[36:37]
	;; [unrolled: 9-line block ×4, first 2 shown]
	v_add_f64 v[1:2], v[11:12], v[1:2]
	scratch_store_b64 off, v[5:6], off offset:120 ; 8-byte Folded Spill
	v_fma_f64 v[11:12], v[35:36], s[14:15], -v[5:6]
	v_mul_f64 v[5:6], v[128:129], s[42:43]
	s_delay_alu instid0(VALU_DEP_2) | instskip(NEXT) | instid1(VALU_DEP_2)
	v_add_f64 v[3:4], v[11:12], v[3:4]
	v_fma_f64 v[11:12], v[109:110], s[10:11], v[5:6]
	scratch_store_b64 off, v[5:6], off offset:128 ; 8-byte Folded Spill
	v_mul_f64 v[6:7], v[134:135], s[48:49]
	v_add_f64 v[101:102], v[11:12], v[1:2]
	v_fma_f64 v[11:12], v[71:72], s[10:11], -v[87:88]
	v_mul_f64 v[0:1], v[128:129], s[50:51]
	s_delay_alu instid0(VALU_DEP_2) | instskip(SKIP_3) | instid1(VALU_DEP_3)
	v_add_f64 v[103:104], v[11:12], v[3:4]
	v_fma_f64 v[11:12], v[45:46], s[26:27], v[97:98]
	v_mul_f64 v[4:5], v[132:133], s[42:43]
	v_mul_f64 v[2:3], v[130:131], s[42:43]
	v_add_f64 v[9:10], v[11:12], v[9:10]
	v_fma_f64 v[11:12], v[47:48], s[26:27], -v[99:100]
	s_delay_alu instid0(VALU_DEP_2) | instskip(NEXT) | instid1(VALU_DEP_2)
	v_add_f64 v[9:10], v[13:14], v[9:10]
	v_add_f64 v[11:12], v[11:12], v[15:16]
	v_fma_f64 v[13:14], v[43:44], s[16:17], -v[67:68]
	s_delay_alu instid0(VALU_DEP_1) | instskip(SKIP_1) | instid1(VALU_DEP_1)
	v_add_f64 v[11:12], v[13:14], v[11:12]
	v_fma_f64 v[13:14], v[37:38], s[10:11], v[105:106]
	v_add_f64 v[9:10], v[13:14], v[9:10]
	v_fma_f64 v[13:14], v[39:40], s[10:11], -v[107:108]
	s_delay_alu instid0(VALU_DEP_1) | instskip(SKIP_1) | instid1(VALU_DEP_1)
	v_add_f64 v[11:12], v[13:14], v[11:12]
	v_fma_f64 v[13:14], v[29:30], s[14:15], v[65:66]
	;; [unrolled: 5-line block ×5, first 2 shown]
	v_add_f64 v[81:82], v[13:14], v[9:10]
	v_fma_f64 v[13:14], v[71:72], s[0:1], -v[124:125]
	v_mul_f64 v[8:9], v[136:137], s[48:49]
	s_delay_alu instid0(VALU_DEP_2) | instskip(SKIP_2) | instid1(VALU_DEP_2)
	v_add_f64 v[83:84], v[13:14], v[11:12]
	v_fma_f64 v[13:14], v[45:46], s[16:17], v[140:141]
	v_fma_f64 v[10:11], v[69:70], s[0:1], v[57:58]
	v_add_f64 v[13:14], v[13:14], v[142:143]
	v_mul_f64 v[142:143], v[182:183], s[38:39]
	s_delay_alu instid0(VALU_DEP_1) | instskip(NEXT) | instid1(VALU_DEP_1)
	v_fma_f64 v[15:16], v[47:48], s[16:17], -v[142:143]
	v_add_f64 v[15:16], v[15:16], v[146:147]
	v_mul_f64 v[146:147], v[172:173], s[64:65]
	s_delay_alu instid0(VALU_DEP_1) | instskip(NEXT) | instid1(VALU_DEP_1)
	v_fma_f64 v[17:18], v[41:42], s[10:11], v[146:147]
	v_add_f64 v[13:14], v[17:18], v[13:14]
	v_fma_f64 v[17:18], v[43:44], s[10:11], -v[148:149]
	s_delay_alu instid0(VALU_DEP_1) | instskip(SKIP_1) | instid1(VALU_DEP_1)
	v_add_f64 v[15:16], v[17:18], v[15:16]
	v_fma_f64 v[17:18], v[37:38], s[24:25], v[150:151]
	v_add_f64 v[13:14], v[17:18], v[13:14]
	v_fma_f64 v[17:18], v[39:40], s[24:25], -v[152:153]
	s_delay_alu instid0(VALU_DEP_1) | instskip(SKIP_1) | instid1(VALU_DEP_1)
	v_add_f64 v[15:16], v[17:18], v[15:16]
	;; [unrolled: 5-line block ×5, first 2 shown]
	v_fma_f64 v[17:18], v[109:110], s[14:15], v[174:175]
	v_add_f64 v[77:78], v[17:18], v[13:14]
	v_fma_f64 v[17:18], v[71:72], s[14:15], -v[176:177]
	v_mul_f64 v[12:13], v[144:145], s[28:29]
	s_delay_alu instid0(VALU_DEP_2) | instskip(SKIP_2) | instid1(VALU_DEP_2)
	v_add_f64 v[79:80], v[17:18], v[15:16]
	v_fma_f64 v[17:18], v[45:46], s[10:11], v[215:216]
	v_fma_f64 v[14:15], v[35:36], s[0:1], -v[63:64]
	v_add_f64 v[17:18], v[17:18], v[21:22]
	v_fma_f64 v[21:22], v[41:42], s[24:25], v[219:220]
	s_delay_alu instid0(VALU_DEP_1) | instskip(SKIP_1) | instid1(VALU_DEP_1)
	v_add_f64 v[17:18], v[21:22], v[17:18]
	v_fma_f64 v[21:22], v[43:44], s[24:25], -v[221:222]
	v_add_f64 v[19:20], v[21:22], v[19:20]
	v_fma_f64 v[21:22], v[37:38], s[0:1], v[223:224]
	s_delay_alu instid0(VALU_DEP_1) | instskip(SKIP_1) | instid1(VALU_DEP_1)
	v_add_f64 v[17:18], v[21:22], v[17:18]
	v_fma_f64 v[21:22], v[39:40], s[0:1], -v[225:226]
	v_add_f64 v[19:20], v[21:22], v[19:20]
	v_fma_f64 v[21:22], v[29:30], s[18:19], v[227:228]
	s_delay_alu instid0(VALU_DEP_1) | instskip(SKIP_1) | instid1(VALU_DEP_1)
	v_add_f64 v[17:18], v[21:22], v[17:18]
	v_fma_f64 v[21:22], v[27:28], s[18:19], -v[229:230]
	v_add_f64 v[19:20], v[21:22], v[19:20]
	v_fma_f64 v[21:22], v[33:34], s[14:15], v[231:232]
	s_delay_alu instid0(VALU_DEP_1) | instskip(SKIP_1) | instid1(VALU_DEP_1)
	v_add_f64 v[17:18], v[21:22], v[17:18]
	v_fma_f64 v[21:22], v[31:32], s[14:15], -v[233:234]
	v_add_f64 v[19:20], v[21:22], v[19:20]
	v_fma_f64 v[21:22], v[69:70], s[16:17], v[235:236]
	s_delay_alu instid0(VALU_DEP_1) | instskip(SKIP_1) | instid1(VALU_DEP_1)
	v_add_f64 v[17:18], v[21:22], v[17:18]
	v_fma_f64 v[21:22], v[35:36], s[16:17], -v[237:238]
	v_add_f64 v[19:20], v[21:22], v[19:20]
	v_fma_f64 v[21:22], v[109:110], s[12:13], v[241:242]
	s_delay_alu instid0(VALU_DEP_1) | instskip(SKIP_2) | instid1(VALU_DEP_2)
	v_add_f64 v[73:74], v[21:22], v[17:18]
	v_fma_f64 v[21:22], v[71:72], s[12:13], -v[243:244]
	v_mul_f64 v[16:17], v[164:165], s[40:41]
	v_add_f64 v[75:76], v[21:22], v[19:20]
	v_fma_f64 v[21:22], v[45:46], s[14:15], v[245:246]
	v_fma_f64 v[18:19], v[109:110], s[16:17], v[61:62]
	s_delay_alu instid0(VALU_DEP_2) | instskip(SKIP_1) | instid1(VALU_DEP_2)
	v_add_f64 v[21:22], v[21:22], v[23:24]
	v_fma_f64 v[23:24], v[47:48], s[14:15], -v[247:248]
	v_add_f64 v[21:22], v[187:188], v[21:22]
	s_delay_alu instid0(VALU_DEP_2) | instskip(SKIP_1) | instid1(VALU_DEP_1)
	v_add_f64 v[23:24], v[23:24], v[189:190]
	v_fma_f64 v[187:188], v[43:44], s[12:13], -v[251:252]
	v_add_f64 v[23:24], v[187:188], v[23:24]
	v_fma_f64 v[187:188], v[37:38], s[18:19], v[253:254]
	s_delay_alu instid0(VALU_DEP_1) | instskip(SKIP_1) | instid1(VALU_DEP_1)
	v_add_f64 v[21:22], v[187:188], v[21:22]
	v_fma_f64 v[187:188], v[39:40], s[18:19], -v[239:240]
	v_add_f64 v[23:24], v[187:188], v[23:24]
	v_fma_f64 v[187:188], v[29:30], s[10:11], v[49:50]
	s_delay_alu instid0(VALU_DEP_1) | instskip(SKIP_1) | instid1(VALU_DEP_1)
	v_add_f64 v[21:22], v[187:188], v[21:22]
	v_fma_f64 v[187:188], v[27:28], s[10:11], -v[51:52]
	v_add_f64 v[23:24], v[187:188], v[23:24]
	v_fma_f64 v[187:188], v[33:34], s[26:27], v[53:54]
	s_delay_alu instid0(VALU_DEP_1) | instskip(SKIP_1) | instid1(VALU_DEP_2)
	v_add_f64 v[21:22], v[187:188], v[21:22]
	v_fma_f64 v[187:188], v[31:32], s[26:27], -v[55:56]
	v_add_f64 v[10:11], v[10:11], v[21:22]
	s_delay_alu instid0(VALU_DEP_2) | instskip(SKIP_1) | instid1(VALU_DEP_3)
	v_add_f64 v[23:24], v[187:188], v[23:24]
	v_mul_f64 v[20:21], v[170:171], s[44:45]
	v_add_f64 v[211:212], v[18:19], v[10:11]
	s_delay_alu instid0(VALU_DEP_3)
	v_add_f64 v[14:15], v[14:15], v[23:24]
	v_fma_f64 v[18:19], v[71:72], s[16:17], -v[59:60]
	v_mul_f64 v[24:25], v[184:185], s[58:59]
	v_fma_f64 v[22:23], v[43:44], s[0:1], -v[20:21]
	v_mul_f64 v[10:11], v[138:139], s[28:29]
	v_fma_f64 v[20:21], v[43:44], s[0:1], v[20:21]
	v_add_f64 v[213:214], v[18:19], v[14:15]
	v_fma_f64 v[18:19], v[45:46], s[24:25], v[24:25]
	v_mul_f64 v[14:15], v[154:155], s[40:41]
	s_delay_alu instid0(VALU_DEP_2) | instskip(SKIP_1) | instid1(VALU_DEP_1)
	v_add_f64 v[18:19], v[18:19], v[191:192]
	v_mul_f64 v[191:192], v[182:183], s[58:59]
	v_fma_f64 v[187:188], v[47:48], s[24:25], -v[191:192]
	s_delay_alu instid0(VALU_DEP_1) | instskip(SKIP_1) | instid1(VALU_DEP_2)
	v_add_f64 v[187:188], v[187:188], v[193:194]
	v_mul_f64 v[193:194], v[172:173], s[44:45]
	v_add_f64 v[22:23], v[22:23], v[187:188]
	s_delay_alu instid0(VALU_DEP_2) | instskip(SKIP_2) | instid1(VALU_DEP_3)
	v_fma_f64 v[189:190], v[41:42], s[0:1], v[193:194]
	v_fma_f64 v[187:188], v[37:38], s[14:15], v[16:17]
	v_fma_f64 v[16:17], v[37:38], s[14:15], -v[16:17]
	v_add_f64 v[18:19], v[189:190], v[18:19]
	s_delay_alu instid0(VALU_DEP_1) | instskip(SKIP_2) | instid1(VALU_DEP_2)
	v_add_f64 v[18:19], v[187:188], v[18:19]
	v_fma_f64 v[187:188], v[39:40], s[14:15], -v[14:15]
	v_fma_f64 v[14:15], v[39:40], s[14:15], v[14:15]
	v_add_f64 v[22:23], v[187:188], v[22:23]
	v_fma_f64 v[187:188], v[29:30], s[26:27], v[12:13]
	v_fma_f64 v[12:13], v[29:30], s[26:27], -v[12:13]
	s_delay_alu instid0(VALU_DEP_2) | instskip(SKIP_2) | instid1(VALU_DEP_2)
	v_add_f64 v[18:19], v[187:188], v[18:19]
	v_fma_f64 v[187:188], v[27:28], s[26:27], -v[10:11]
	v_fma_f64 v[10:11], v[27:28], s[26:27], v[10:11]
	v_add_f64 v[22:23], v[187:188], v[22:23]
	v_fma_f64 v[187:188], v[33:34], s[12:13], v[8:9]
	v_fma_f64 v[8:9], v[33:34], s[12:13], -v[8:9]
	s_delay_alu instid0(VALU_DEP_2) | instskip(SKIP_2) | instid1(VALU_DEP_2)
	;; [unrolled: 7-line block ×3, first 2 shown]
	v_add_f64 v[18:19], v[187:188], v[18:19]
	v_fma_f64 v[187:188], v[35:36], s[10:11], -v[2:3]
	v_fma_f64 v[2:3], v[35:36], s[10:11], v[2:3]
	v_add_f64 v[22:23], v[187:188], v[22:23]
	v_fma_f64 v[187:188], v[109:110], s[18:19], v[0:1]
	v_fma_f64 v[0:1], v[109:110], s[18:19], -v[0:1]
	s_delay_alu instid0(VALU_DEP_2) | instskip(SKIP_1) | instid1(VALU_DEP_1)
	v_add_f64 v[187:188], v[187:188], v[18:19]
	v_mul_f64 v[18:19], v[126:127], s[50:51]
	v_fma_f64 v[189:190], v[71:72], s[18:19], -v[18:19]
	s_delay_alu instid0(VALU_DEP_1) | instskip(SKIP_3) | instid1(VALU_DEP_3)
	v_add_f64 v[189:190], v[189:190], v[22:23]
	v_fma_f64 v[22:23], v[45:46], s[24:25], -v[24:25]
	v_fma_f64 v[24:25], v[47:48], s[24:25], v[191:192]
	v_fma_f64 v[191:192], v[41:42], s[0:1], -v[193:194]
	v_add_f64 v[22:23], v[22:23], v[195:196]
	s_delay_alu instid0(VALU_DEP_3) | instskip(NEXT) | instid1(VALU_DEP_2)
	v_add_f64 v[24:25], v[24:25], v[197:198]
	v_add_f64 v[22:23], v[191:192], v[22:23]
	s_delay_alu instid0(VALU_DEP_2) | instskip(NEXT) | instid1(VALU_DEP_2)
	v_add_f64 v[20:21], v[20:21], v[24:25]
	v_add_f64 v[16:17], v[16:17], v[22:23]
	s_delay_alu instid0(VALU_DEP_2) | instskip(NEXT) | instid1(VALU_DEP_2)
	;; [unrolled: 3-line block ×4, first 2 shown]
	v_add_f64 v[6:7], v[6:7], v[10:11]
	v_add_f64 v[4:5], v[4:5], v[8:9]
	s_delay_alu instid0(VALU_DEP_2) | instskip(SKIP_2) | instid1(VALU_DEP_4)
	v_add_f64 v[2:3], v[2:3], v[6:7]
	v_fma_f64 v[6:7], v[71:72], s[18:19], v[18:19]
	v_mul_f64 v[8:9], v[172:173], s[46:47]
	v_add_f64 v[191:192], v[0:1], v[4:5]
	v_mul_f64 v[0:1], v[184:185], s[50:51]
	s_delay_alu instid0(VALU_DEP_4) | instskip(SKIP_2) | instid1(VALU_DEP_4)
	v_add_f64 v[193:194], v[6:7], v[2:3]
	v_mul_f64 v[4:5], v[182:183], s[50:51]
	v_fma_f64 v[10:11], v[41:42], s[26:27], v[8:9]
	v_fma_f64 v[2:3], v[45:46], s[18:19], v[0:1]
	v_fma_f64 v[0:1], v[45:46], s[18:19], -v[0:1]
	s_delay_alu instid0(VALU_DEP_4) | instskip(SKIP_1) | instid1(VALU_DEP_4)
	v_fma_f64 v[6:7], v[47:48], s[18:19], -v[4:5]
	v_fma_f64 v[4:5], v[47:48], s[18:19], v[4:5]
	v_add_f64 v[2:3], v[2:3], v[199:200]
	v_mul_f64 v[199:200], v[130:131], s[52:53]
	s_delay_alu instid0(VALU_DEP_4)
	v_add_f64 v[6:7], v[6:7], v[201:202]
	v_mul_f64 v[201:202], v[128:129], s[36:37]
	v_add_f64 v[0:1], v[0:1], v[203:204]
	v_add_f64 v[4:5], v[4:5], v[205:206]
	v_mul_f64 v[130:131], v[130:131], s[36:37]
	v_add_f64 v[2:3], v[10:11], v[2:3]
	v_mul_f64 v[10:11], v[170:171], s[46:47]
	s_delay_alu instid0(VALU_DEP_1) | instskip(NEXT) | instid1(VALU_DEP_1)
	v_fma_f64 v[12:13], v[43:44], s[26:27], -v[10:11]
	v_add_f64 v[6:7], v[12:13], v[6:7]
	v_mul_f64 v[12:13], v[164:165], s[60:61]
	s_delay_alu instid0(VALU_DEP_1) | instskip(NEXT) | instid1(VALU_DEP_1)
	v_fma_f64 v[14:15], v[37:38], s[16:17], v[12:13]
	v_add_f64 v[2:3], v[14:15], v[2:3]
	v_mul_f64 v[14:15], v[154:155], s[60:61]
	s_delay_alu instid0(VALU_DEP_1) | instskip(NEXT) | instid1(VALU_DEP_1)
	v_fma_f64 v[16:17], v[39:40], s[16:17], -v[14:15]
	v_add_f64 v[6:7], v[16:17], v[6:7]
	v_mul_f64 v[16:17], v[144:145], s[44:45]
	s_delay_alu instid0(VALU_DEP_1) | instskip(NEXT) | instid1(VALU_DEP_1)
	v_fma_f64 v[18:19], v[29:30], s[0:1], v[16:17]
	;; [unrolled: 8-line block ×4, first 2 shown]
	v_add_f64 v[2:3], v[195:196], v[2:3]
	v_fma_f64 v[195:196], v[35:36], s[12:13], -v[199:200]
	s_delay_alu instid0(VALU_DEP_1) | instskip(SKIP_1) | instid1(VALU_DEP_1)
	v_add_f64 v[6:7], v[195:196], v[6:7]
	v_fma_f64 v[195:196], v[109:110], s[24:25], v[201:202]
	v_add_f64 v[195:196], v[195:196], v[2:3]
	v_mul_f64 v[2:3], v[126:127], s[36:37]
	s_delay_alu instid0(VALU_DEP_1) | instskip(SKIP_1) | instid1(VALU_DEP_2)
	v_fma_f64 v[197:198], v[71:72], s[24:25], -v[2:3]
	v_fma_f64 v[2:3], v[71:72], s[24:25], v[2:3]
	v_add_f64 v[197:198], v[197:198], v[6:7]
	v_fma_f64 v[6:7], v[41:42], s[26:27], -v[8:9]
	v_mul_f64 v[8:9], v[172:173], s[40:41]
	s_delay_alu instid0(VALU_DEP_2) | instskip(SKIP_1) | instid1(VALU_DEP_3)
	v_add_f64 v[0:1], v[6:7], v[0:1]
	v_fma_f64 v[6:7], v[43:44], s[26:27], v[10:11]
	v_fma_f64 v[10:11], v[41:42], s[14:15], v[8:9]
	s_delay_alu instid0(VALU_DEP_2) | instskip(SKIP_1) | instid1(VALU_DEP_1)
	v_add_f64 v[4:5], v[6:7], v[4:5]
	v_fma_f64 v[6:7], v[37:38], s[16:17], -v[12:13]
	v_add_f64 v[0:1], v[6:7], v[0:1]
	v_fma_f64 v[6:7], v[39:40], s[16:17], v[14:15]
	s_delay_alu instid0(VALU_DEP_1) | instskip(SKIP_1) | instid1(VALU_DEP_1)
	v_add_f64 v[4:5], v[6:7], v[4:5]
	v_fma_f64 v[6:7], v[29:30], s[0:1], -v[16:17]
	v_add_f64 v[0:1], v[6:7], v[0:1]
	v_fma_f64 v[6:7], v[27:28], s[0:1], v[18:19]
	s_delay_alu instid0(VALU_DEP_1) | instskip(SKIP_1) | instid1(VALU_DEP_1)
	;; [unrolled: 5-line block ×3, first 2 shown]
	v_add_f64 v[4:5], v[6:7], v[4:5]
	v_fma_f64 v[6:7], v[69:70], s[12:13], -v[24:25]
	v_add_f64 v[0:1], v[6:7], v[0:1]
	v_fma_f64 v[6:7], v[35:36], s[12:13], v[199:200]
	s_delay_alu instid0(VALU_DEP_1) | instskip(SKIP_1) | instid1(VALU_DEP_2)
	v_add_f64 v[4:5], v[6:7], v[4:5]
	v_fma_f64 v[6:7], v[109:110], s[24:25], -v[201:202]
	v_add_f64 v[201:202], v[2:3], v[4:5]
	s_delay_alu instid0(VALU_DEP_2) | instskip(SKIP_2) | instid1(VALU_DEP_2)
	v_add_f64 v[199:200], v[6:7], v[0:1]
	v_mul_f64 v[0:1], v[184:185], s[54:55]
	v_mul_f64 v[4:5], v[182:183], s[54:55]
	v_fma_f64 v[2:3], v[45:46], s[0:1], v[0:1]
	s_delay_alu instid0(VALU_DEP_2) | instskip(SKIP_1) | instid1(VALU_DEP_3)
	v_fma_f64 v[6:7], v[47:48], s[0:1], -v[4:5]
	v_fma_f64 v[0:1], v[45:46], s[0:1], -v[0:1]
	v_add_f64 v[2:3], v[2:3], v[207:208]
	s_delay_alu instid0(VALU_DEP_3) | instskip(NEXT) | instid1(VALU_DEP_3)
	v_add_f64 v[6:7], v[6:7], v[209:210]
	v_add_f64 v[0:1], v[0:1], v[89:90]
	s_delay_alu instid0(VALU_DEP_3) | instskip(SKIP_1) | instid1(VALU_DEP_1)
	v_add_f64 v[2:3], v[10:11], v[2:3]
	v_mul_f64 v[10:11], v[170:171], s[40:41]
	v_fma_f64 v[12:13], v[43:44], s[14:15], -v[10:11]
	s_delay_alu instid0(VALU_DEP_1) | instskip(SKIP_1) | instid1(VALU_DEP_1)
	v_add_f64 v[6:7], v[12:13], v[6:7]
	v_mul_f64 v[12:13], v[164:165], s[52:53]
	v_fma_f64 v[14:15], v[37:38], s[12:13], v[12:13]
	s_delay_alu instid0(VALU_DEP_1) | instskip(SKIP_1) | instid1(VALU_DEP_1)
	v_add_f64 v[2:3], v[14:15], v[2:3]
	v_mul_f64 v[14:15], v[154:155], s[52:53]
	v_fma_f64 v[16:17], v[39:40], s[12:13], -v[14:15]
	s_delay_alu instid0(VALU_DEP_1) | instskip(SKIP_1) | instid1(VALU_DEP_1)
	v_add_f64 v[6:7], v[16:17], v[6:7]
	v_mul_f64 v[16:17], v[144:145], s[38:39]
	v_fma_f64 v[18:19], v[29:30], s[16:17], v[16:17]
	s_delay_alu instid0(VALU_DEP_1) | instskip(SKIP_1) | instid1(VALU_DEP_1)
	v_add_f64 v[2:3], v[18:19], v[2:3]
	v_mul_f64 v[18:19], v[138:139], s[38:39]
	v_fma_f64 v[20:21], v[27:28], s[16:17], -v[18:19]
	s_delay_alu instid0(VALU_DEP_1) | instskip(SKIP_1) | instid1(VALU_DEP_1)
	v_add_f64 v[6:7], v[20:21], v[6:7]
	v_mul_f64 v[20:21], v[136:137], s[50:51]
	v_fma_f64 v[22:23], v[33:34], s[18:19], v[20:21]
	s_delay_alu instid0(VALU_DEP_1) | instskip(SKIP_2) | instid1(VALU_DEP_2)
	v_add_f64 v[2:3], v[22:23], v[2:3]
	v_mul_f64 v[22:23], v[134:135], s[50:51]
	v_mul_f64 v[134:135], v[126:127], s[28:29]
	v_fma_f64 v[24:25], v[31:32], s[18:19], -v[22:23]
	s_delay_alu instid0(VALU_DEP_1) | instskip(SKIP_1) | instid1(VALU_DEP_1)
	v_add_f64 v[6:7], v[24:25], v[6:7]
	v_mul_f64 v[24:25], v[132:133], s[36:37]
	v_fma_f64 v[132:133], v[69:70], s[24:25], v[24:25]
	s_delay_alu instid0(VALU_DEP_1) | instskip(SKIP_1) | instid1(VALU_DEP_1)
	v_add_f64 v[2:3], v[132:133], v[2:3]
	v_fma_f64 v[132:133], v[35:36], s[24:25], -v[130:131]
	v_add_f64 v[6:7], v[132:133], v[6:7]
	v_mul_f64 v[132:133], v[128:129], s[28:29]
	s_delay_alu instid0(VALU_DEP_1) | instskip(NEXT) | instid1(VALU_DEP_1)
	v_fma_f64 v[126:127], v[109:110], s[26:27], v[132:133]
	v_add_f64 v[126:127], v[126:127], v[2:3]
	v_fma_f64 v[2:3], v[71:72], s[26:27], -v[134:135]
	s_delay_alu instid0(VALU_DEP_1) | instskip(SKIP_3) | instid1(VALU_DEP_3)
	v_add_f64 v[128:129], v[2:3], v[6:7]
	v_fma_f64 v[2:3], v[47:48], s[0:1], v[4:5]
	v_fma_f64 v[4:5], v[41:42], s[14:15], -v[8:9]
	v_fma_f64 v[6:7], v[71:72], s[26:27], v[134:135]
	v_add_f64 v[2:3], v[2:3], v[91:92]
	s_delay_alu instid0(VALU_DEP_3) | instskip(SKIP_1) | instid1(VALU_DEP_1)
	v_add_f64 v[0:1], v[4:5], v[0:1]
	v_fma_f64 v[4:5], v[43:44], s[14:15], v[10:11]
	v_add_f64 v[2:3], v[4:5], v[2:3]
	v_fma_f64 v[4:5], v[37:38], s[12:13], -v[12:13]
	s_delay_alu instid0(VALU_DEP_1) | instskip(SKIP_1) | instid1(VALU_DEP_1)
	v_add_f64 v[0:1], v[4:5], v[0:1]
	v_fma_f64 v[4:5], v[39:40], s[12:13], v[14:15]
	v_add_f64 v[2:3], v[4:5], v[2:3]
	v_fma_f64 v[4:5], v[29:30], s[16:17], -v[16:17]
	s_delay_alu instid0(VALU_DEP_1) | instskip(SKIP_1) | instid1(VALU_DEP_1)
	;; [unrolled: 5-line block ×4, first 2 shown]
	v_add_f64 v[0:1], v[4:5], v[0:1]
	v_fma_f64 v[4:5], v[35:36], s[24:25], v[130:131]
	v_add_f64 v[2:3], v[4:5], v[2:3]
	v_fma_f64 v[4:5], v[109:110], s[26:27], -v[132:133]
	s_delay_alu instid0(VALU_DEP_2) | instskip(NEXT) | instid1(VALU_DEP_2)
	v_add_f64 v[132:133], v[6:7], v[2:3]
	v_add_f64 v[130:131], v[4:5], v[0:1]
	v_fma_f64 v[0:1], v[45:46], s[14:15], -v[245:246]
	v_fma_f64 v[2:3], v[47:48], s[14:15], v[247:248]
	v_fma_f64 v[4:5], v[41:42], s[12:13], -v[249:250]
	v_fma_f64 v[6:7], v[71:72], s[16:17], v[59:60]
	s_delay_alu instid0(VALU_DEP_4) | instskip(NEXT) | instid1(VALU_DEP_4)
	v_add_f64 v[0:1], v[0:1], v[95:96]
	v_add_f64 v[2:3], v[2:3], v[93:94]
	s_delay_alu instid0(VALU_DEP_2) | instskip(SKIP_1) | instid1(VALU_DEP_1)
	v_add_f64 v[0:1], v[4:5], v[0:1]
	v_fma_f64 v[4:5], v[43:44], s[12:13], v[251:252]
	v_add_f64 v[2:3], v[4:5], v[2:3]
	v_fma_f64 v[4:5], v[37:38], s[18:19], -v[253:254]
	s_delay_alu instid0(VALU_DEP_1) | instskip(SKIP_1) | instid1(VALU_DEP_1)
	v_add_f64 v[0:1], v[4:5], v[0:1]
	v_fma_f64 v[4:5], v[39:40], s[18:19], v[239:240]
	v_add_f64 v[2:3], v[4:5], v[2:3]
	v_fma_f64 v[4:5], v[29:30], s[10:11], -v[49:50]
	s_delay_alu instid0(VALU_DEP_1) | instskip(SKIP_1) | instid1(VALU_DEP_1)
	v_add_f64 v[0:1], v[4:5], v[0:1]
	v_fma_f64 v[4:5], v[27:28], s[10:11], v[51:52]
	v_add_f64 v[2:3], v[4:5], v[2:3]
	v_fma_f64 v[4:5], v[33:34], s[26:27], -v[53:54]
	s_delay_alu instid0(VALU_DEP_1) | instskip(SKIP_1) | instid1(VALU_DEP_1)
	v_add_f64 v[0:1], v[4:5], v[0:1]
	v_fma_f64 v[4:5], v[31:32], s[26:27], v[55:56]
	v_add_f64 v[2:3], v[4:5], v[2:3]
	v_fma_f64 v[4:5], v[69:70], s[0:1], -v[57:58]
	s_delay_alu instid0(VALU_DEP_1) | instskip(SKIP_1) | instid1(VALU_DEP_1)
	v_add_f64 v[0:1], v[4:5], v[0:1]
	v_fma_f64 v[4:5], v[35:36], s[0:1], v[63:64]
	v_add_f64 v[2:3], v[4:5], v[2:3]
	v_fma_f64 v[4:5], v[109:110], s[16:17], -v[61:62]
	s_delay_alu instid0(VALU_DEP_2)
	v_add_f64 v[136:137], v[6:7], v[2:3]
	scratch_load_b64 v[2:3], off, off offset:160 ; 8-byte Folded Reload
	v_add_f64 v[134:135], v[4:5], v[0:1]
	scratch_load_b64 v[4:5], off, off offset:152 ; 8-byte Folded Reload
	v_fma_f64 v[0:1], v[45:46], s[10:11], -v[215:216]
	v_fma_f64 v[6:7], v[71:72], s[12:13], v[243:244]
	s_waitcnt vmcnt(1)
	s_delay_alu instid0(VALU_DEP_2) | instskip(SKIP_2) | instid1(VALU_DEP_1)
	v_add_f64 v[0:1], v[0:1], v[2:3]
	v_fma_f64 v[2:3], v[47:48], s[10:11], v[217:218]
	s_waitcnt vmcnt(0)
	v_add_f64 v[2:3], v[2:3], v[4:5]
	v_fma_f64 v[4:5], v[41:42], s[24:25], -v[219:220]
	s_delay_alu instid0(VALU_DEP_1) | instskip(SKIP_1) | instid1(VALU_DEP_1)
	v_add_f64 v[0:1], v[4:5], v[0:1]
	v_fma_f64 v[4:5], v[43:44], s[24:25], v[221:222]
	v_add_f64 v[2:3], v[4:5], v[2:3]
	v_fma_f64 v[4:5], v[37:38], s[0:1], -v[223:224]
	s_delay_alu instid0(VALU_DEP_1) | instskip(SKIP_1) | instid1(VALU_DEP_1)
	v_add_f64 v[0:1], v[4:5], v[0:1]
	v_fma_f64 v[4:5], v[39:40], s[0:1], v[225:226]
	v_add_f64 v[2:3], v[4:5], v[2:3]
	v_fma_f64 v[4:5], v[29:30], s[18:19], -v[227:228]
	s_delay_alu instid0(VALU_DEP_1) | instskip(SKIP_1) | instid1(VALU_DEP_1)
	v_add_f64 v[0:1], v[4:5], v[0:1]
	v_fma_f64 v[4:5], v[27:28], s[18:19], v[229:230]
	v_add_f64 v[2:3], v[4:5], v[2:3]
	v_fma_f64 v[4:5], v[33:34], s[14:15], -v[231:232]
	s_delay_alu instid0(VALU_DEP_1) | instskip(SKIP_1) | instid1(VALU_DEP_1)
	v_add_f64 v[0:1], v[4:5], v[0:1]
	v_fma_f64 v[4:5], v[31:32], s[14:15], v[233:234]
	v_add_f64 v[2:3], v[4:5], v[2:3]
	v_fma_f64 v[4:5], v[69:70], s[16:17], -v[235:236]
	s_delay_alu instid0(VALU_DEP_1) | instskip(SKIP_1) | instid1(VALU_DEP_1)
	v_add_f64 v[0:1], v[4:5], v[0:1]
	v_fma_f64 v[4:5], v[35:36], s[16:17], v[237:238]
	v_add_f64 v[2:3], v[4:5], v[2:3]
	v_fma_f64 v[4:5], v[109:110], s[12:13], -v[241:242]
	s_delay_alu instid0(VALU_DEP_2)
	v_add_f64 v[95:96], v[6:7], v[2:3]
	scratch_load_b64 v[2:3], off, off offset:144 ; 8-byte Folded Reload
	v_add_f64 v[93:94], v[4:5], v[0:1]
	scratch_load_b64 v[4:5], off, off offset:136 ; 8-byte Folded Reload
	v_fma_f64 v[0:1], v[45:46], s[16:17], -v[140:141]
	v_fma_f64 v[6:7], v[71:72], s[14:15], v[176:177]
	s_waitcnt vmcnt(1)
	s_delay_alu instid0(VALU_DEP_2) | instskip(SKIP_2) | instid1(VALU_DEP_1)
	v_add_f64 v[0:1], v[0:1], v[2:3]
	v_fma_f64 v[2:3], v[47:48], s[16:17], v[142:143]
	s_waitcnt vmcnt(0)
	v_add_f64 v[2:3], v[2:3], v[4:5]
	v_fma_f64 v[4:5], v[41:42], s[10:11], -v[146:147]
	s_delay_alu instid0(VALU_DEP_1) | instskip(SKIP_1) | instid1(VALU_DEP_1)
	;; [unrolled: 39-line block ×3, first 2 shown]
	v_add_f64 v[0:1], v[4:5], v[0:1]
	v_fma_f64 v[4:5], v[43:44], s[16:17], v[67:68]
	v_add_f64 v[2:3], v[4:5], v[2:3]
	v_fma_f64 v[4:5], v[37:38], s[10:11], -v[105:106]
	s_delay_alu instid0(VALU_DEP_1) | instskip(SKIP_1) | instid1(VALU_DEP_1)
	v_add_f64 v[0:1], v[4:5], v[0:1]
	v_fma_f64 v[4:5], v[39:40], s[10:11], v[107:108]
	v_add_f64 v[2:3], v[4:5], v[2:3]
	v_fma_f64 v[4:5], v[29:30], s[14:15], -v[65:66]
	s_delay_alu instid0(VALU_DEP_1) | instskip(SKIP_1) | instid1(VALU_DEP_1)
	v_add_f64 v[0:1], v[4:5], v[0:1]
	v_fma_f64 v[4:5], v[27:28], s[14:15], v[111:112]
	v_add_f64 v[2:3], v[4:5], v[2:3]
	v_fma_f64 v[4:5], v[33:34], s[24:25], -v[114:115]
	v_lshlrev_b32_e32 v114, 4, v255
	s_delay_alu instid0(VALU_DEP_2) | instskip(SKIP_1) | instid1(VALU_DEP_1)
	v_add_f64 v[0:1], v[4:5], v[0:1]
	v_fma_f64 v[4:5], v[31:32], s[24:25], v[116:117]
	v_add_f64 v[2:3], v[4:5], v[2:3]
	v_fma_f64 v[4:5], v[69:70], s[18:19], -v[118:119]
	s_delay_alu instid0(VALU_DEP_1) | instskip(SKIP_1) | instid1(VALU_DEP_1)
	v_add_f64 v[0:1], v[4:5], v[0:1]
	v_fma_f64 v[4:5], v[35:36], s[18:19], v[120:121]
	v_add_f64 v[2:3], v[4:5], v[2:3]
	v_fma_f64 v[4:5], v[109:110], s[0:1], -v[122:123]
	s_delay_alu instid0(VALU_DEP_2) | instskip(NEXT) | instid1(VALU_DEP_2)
	v_add_f64 v[99:100], v[6:7], v[2:3]
	v_add_f64 v[97:98], v[4:5], v[0:1]
	s_clause 0x3
	scratch_load_b64 v[0:1], off, off offset:32
	scratch_load_b64 v[6:7], off, off offset:56
	scratch_load_b64 v[4:5], off, off
	scratch_load_b64 v[2:3], off, off offset:40
	s_waitcnt vmcnt(3)
	v_fma_f64 v[0:1], v[45:46], s[12:13], -v[0:1]
	s_waitcnt vmcnt(2)
	v_fma_f64 v[6:7], v[43:44], s[18:19], v[6:7]
	s_waitcnt vmcnt(1)
	s_delay_alu instid0(VALU_DEP_2) | instskip(SKIP_4) | instid1(VALU_DEP_1)
	v_add_f64 v[0:1], v[0:1], v[4:5]
	scratch_load_b64 v[4:5], off, off offset:8 ; 8-byte Folded Reload
	s_waitcnt vmcnt(1)
	v_fma_f64 v[2:3], v[47:48], s[12:13], v[2:3]
	s_waitcnt vmcnt(0)
	v_add_f64 v[2:3], v[2:3], v[4:5]
	scratch_load_b64 v[4:5], off, off offset:48 ; 8-byte Folded Reload
	v_add_f64 v[2:3], v[6:7], v[2:3]
	scratch_load_b64 v[6:7], off, off offset:72 ; 8-byte Folded Reload
	s_waitcnt vmcnt(1)
	v_fma_f64 v[4:5], v[41:42], s[18:19], -v[4:5]
	s_delay_alu instid0(VALU_DEP_1) | instskip(SKIP_3) | instid1(VALU_DEP_1)
	v_add_f64 v[0:1], v[4:5], v[0:1]
	scratch_load_b64 v[4:5], off, off offset:64 ; 8-byte Folded Reload
	s_waitcnt vmcnt(1)
	v_fma_f64 v[6:7], v[39:40], s[26:27], v[6:7]
	v_add_f64 v[2:3], v[6:7], v[2:3]
	scratch_load_b64 v[6:7], off, off offset:88 ; 8-byte Folded Reload
	s_waitcnt vmcnt(1)
	v_fma_f64 v[4:5], v[37:38], s[26:27], -v[4:5]
	s_delay_alu instid0(VALU_DEP_1) | instskip(SKIP_3) | instid1(VALU_DEP_1)
	v_add_f64 v[0:1], v[4:5], v[0:1]
	scratch_load_b64 v[4:5], off, off offset:80 ; 8-byte Folded Reload
	s_waitcnt vmcnt(1)
	v_fma_f64 v[6:7], v[27:28], s[24:25], v[6:7]
	;; [unrolled: 9-line block ×4, first 2 shown]
	v_add_f64 v[2:3], v[6:7], v[2:3]
	v_fma_f64 v[6:7], v[71:72], s[10:11], v[87:88]
	s_delay_alu instid0(VALU_DEP_1) | instskip(SKIP_2) | instid1(VALU_DEP_1)
	v_add_f64 v[27:28], v[6:7], v[2:3]
	s_waitcnt vmcnt(0)
	v_fma_f64 v[4:5], v[69:70], s[14:15], -v[4:5]
	v_add_f64 v[0:1], v[4:5], v[0:1]
	scratch_load_b64 v[4:5], off, off offset:128 ; 8-byte Folded Reload
	s_waitcnt vmcnt(0)
	v_fma_f64 v[4:5], v[109:110], s[10:11], -v[4:5]
	s_delay_alu instid0(VALU_DEP_1) | instskip(SKIP_1) | instid1(VALU_DEP_1)
	v_add_f64 v[25:26], v[4:5], v[0:1]
	v_mul_u32_u24_e32 v0, 0x770, v186
	v_add3_u32 v0, 0, v0, v114
	ds_store_b128 v0, v[178:181]
	ds_store_b128 v0, v[101:104] offset:112
	ds_store_b128 v0, v[81:84] offset:224
	;; [unrolled: 1-line block ×6, first 2 shown]
	s_load_b64 s[30:31], s[30:31], 0x0
	ds_store_b128 v0, v[195:198] offset:784
	ds_store_b128 v0, v[126:129] offset:896
	;; [unrolled: 1-line block ×10, first 2 shown]
	s_waitcnt lgkmcnt(0)
	s_waitcnt_vscnt null, 0x0
	s_barrier
	buffer_gl0_inv
	s_and_saveexec_b32 s33, s23
	s_cbranch_execz .LBB0_48
; %bb.47:
	v_mul_lo_u16 v0, v186, 31
	s_movk_i32 s23, 0xff0
	s_delay_alu instid0(VALU_DEP_1) | instskip(NEXT) | instid1(VALU_DEP_1)
	v_lshrrev_b16 v0, 9, v0
	v_mul_lo_u16 v0, v0, 17
	s_delay_alu instid0(VALU_DEP_1) | instskip(NEXT) | instid1(VALU_DEP_1)
	v_sub_nc_u16 v0, v186, v0
	v_and_b32_e32 v5, 0xff, v0
	s_delay_alu instid0(VALU_DEP_1)
	v_dual_mov_b32 v7, v5 :: v_dual_lshlrev_b32 v0, 8, v5
	s_clause 0x9
	global_load_b128 v[97:100], v0, s[34:35] offset:64
	global_load_b128 v[77:80], v0, s[34:35] offset:176
	;; [unrolled: 1-line block ×6, first 2 shown]
	global_load_b128 v[105:108], v0, s[34:35]
	global_load_b128 v[109:112], v0, s[34:35] offset:240
	global_load_b128 v[9:12], v0, s[34:35] offset:80
	;; [unrolled: 1-line block ×3, first 2 shown]
	scratch_store_b32 off, v7, off offset:172 ; 4-byte Folded Spill
	s_clause 0x4
	global_load_b128 v[101:104], v0, s[34:35] offset:112
	global_load_b128 v[69:72], v0, s[34:35] offset:96
	;; [unrolled: 1-line block ×5, first 2 shown]
	v_add_nc_u32_e32 v5, 0x110, v7
	v_add_nc_u32_e32 v6, 0xff, v7
	;; [unrolled: 1-line block ×6, first 2 shown]
	v_mul_lo_u32 v21, v113, v5
	v_mul_lo_u32 v22, v113, v6
	global_load_b128 v[5:8], v0, s[34:35] offset:224
	v_mul_lo_u32 v0, v113, v17
	v_mul_lo_u32 v17, v113, v18
	;; [unrolled: 1-line block ×4, first 2 shown]
	v_and_b32_e32 v20, 0xff, v21
	v_lshrrev_b32_e32 v21, 4, v21
	v_and_b32_e32 v23, 0xff, v22
	v_lshrrev_b32_e32 v22, 4, v22
	v_and_b32_e32 v24, 0xff, v0
	v_and_b32_e32 v25, 0xff, v17
	v_lshrrev_b32_e32 v17, 4, v17
	v_and_b32_e32 v26, 0xff, v18
	v_lshrrev_b32_e32 v18, 4, v18
	v_and_b32_e32 v27, 0xff, v19
	v_lshrrev_b32_e32 v19, 4, v19
	v_lshrrev_b32_e32 v0, 4, v0
	v_lshlrev_b32_e32 v20, 4, v20
	v_and_or_b32 v21, v21, s23, 0x1000
	v_lshlrev_b32_e32 v23, 4, v23
	v_and_or_b32 v28, v22, s23, 0x1000
	v_lshlrev_b32_e32 v29, 4, v24
	v_lshlrev_b32_e32 v30, 4, v25
	v_and_or_b32 v33, v17, s23, 0x1000
	v_lshlrev_b32_e32 v34, 4, v26
	v_and_or_b32 v37, v18, s23, 0x1000
	;; [unrolled: 2-line block ×3, first 2 shown]
	v_and_or_b32 v0, v0, s23, 0x1000
	s_clause 0xb
	global_load_b128 v[17:20], v20, s[8:9]
	global_load_b128 v[41:44], v21, s[8:9]
	;; [unrolled: 1-line block ×12, first 2 shown]
	v_mul_u32_u24_e32 v0, 0x70, v186
	s_delay_alu instid0(VALU_DEP_1)
	v_add3_u32 v0, 0, v0, v114
	ds_load_b128 v[114:117], v0 offset:9520
	ds_load_b128 v[118:121], v0 offset:22848
	;; [unrolled: 1-line block ×16, first 2 shown]
	s_waitcnt vmcnt(27) lgkmcnt(15)
	v_mul_f64 v[178:179], v[116:117], v[99:100]
	s_waitcnt vmcnt(26) lgkmcnt(14)
	v_mul_f64 v[180:181], v[120:121], v[79:80]
	s_waitcnt vmcnt(25) lgkmcnt(13)
	v_mul_f64 v[182:183], v[124:125], v[83:84]
	v_mul_f64 v[210:211], v[122:123], v[83:84]
	s_waitcnt vmcnt(23) lgkmcnt(11)
	v_mul_f64 v[186:187], v[132:133], v[87:88]
	v_mul_f64 v[214:215], v[130:131], v[87:88]
	s_waitcnt vmcnt(21) lgkmcnt(9)
	v_mul_f64 v[190:191], v[140:141], v[107:108]
	v_mul_f64 v[194:195], v[138:139], v[107:108]
	;; [unrolled: 1-line block ×4, first 2 shown]
	s_waitcnt vmcnt(20) lgkmcnt(8)
	v_mul_f64 v[196:197], v[142:143], v[111:112]
	s_waitcnt vmcnt(14) lgkmcnt(1)
	v_mul_f64 v[83:84], v[172:173], v[67:68]
	s_waitcnt vmcnt(13)
	v_mul_f64 v[204:205], v[150:151], v[75:76]
	v_mul_f64 v[67:68], v[170:171], v[67:68]
	;; [unrolled: 1-line block ×13, first 2 shown]
	v_fma_f64 v[114:115], v[114:115], v[97:98], v[178:179]
	v_fma_f64 v[111:112], v[118:119], v[77:78], v[180:181]
	v_fma_f64 v[200:201], v[122:123], v[81:82], v[182:183]
	s_waitcnt vmcnt(10)
	v_mul_f64 v[180:181], v[19:20], v[43:44]
	v_fma_f64 v[186:187], v[130:131], v[85:86], v[186:187]
	s_waitcnt lgkmcnt(0)
	v_mul_f64 v[130:131], v[176:177], v[15:16]
	v_fma_f64 v[122:123], v[138:139], v[105:106], v[190:191]
	v_mul_f64 v[138:139], v[174:175], v[15:16]
	v_fma_f64 v[184:185], v[126:127], v[93:94], v[184:185]
	v_fma_f64 v[99:100], v[134:135], v[89:90], v[188:189]
	v_fma_f64 v[126:127], v[140:141], v[105:106], -v[194:195]
	v_fma_f64 v[87:88], v[144:145], v[109:110], -v[196:197]
	;; [unrolled: 1-line block ×3, first 2 shown]
	v_mul_f64 v[134:135], v[166:167], v[11:12]
	v_mul_f64 v[140:141], v[156:157], v[3:4]
	v_mul_f64 v[144:145], v[154:155], v[3:4]
	v_fma_f64 v[95:96], v[142:143], v[109:110], v[192:193]
	v_mul_f64 v[182:183], v[17:18], v[43:44]
	s_waitcnt vmcnt(8)
	v_mul_f64 v[3:4], v[23:24], v[47:48]
	v_mul_f64 v[109:110], v[21:22], v[47:48]
	v_fma_f64 v[47:48], v[136:137], v[89:90], -v[91:92]
	ds_load_b128 v[89:92], v0
	s_waitcnt vmcnt(6)
	v_mul_f64 v[188:189], v[27:28], v[51:52]
	v_mul_f64 v[190:191], v[25:26], v[51:52]
	;; [unrolled: 1-line block ×4, first 2 shown]
	s_waitcnt vmcnt(4)
	v_mul_f64 v[7:8], v[31:32], v[55:56]
	v_mul_f64 v[194:195], v[29:30], v[55:56]
	v_fma_f64 v[55:56], v[120:121], v[77:78], -v[79:80]
	s_waitcnt vmcnt(2)
	v_mul_f64 v[196:197], v[35:36], v[59:60]
	v_mul_f64 v[216:217], v[33:34], v[59:60]
	v_fma_f64 v[59:60], v[116:117], v[97:98], -v[208:209]
	v_fma_f64 v[97:98], v[166:167], v[9:10], v[75:76]
	v_fma_f64 v[11:12], v[150:151], v[73:74], v[107:108]
	v_fma_f64 v[51:52], v[128:129], v[93:94], -v[212:213]
	s_waitcnt vmcnt(0)
	v_mul_f64 v[218:219], v[39:40], v[63:64]
	v_mul_f64 v[208:209], v[37:38], v[63:64]
	v_fma_f64 v[118:119], v[132:133], v[85:86], -v[214:215]
	v_fma_f64 v[246:247], v[146:147], v[101:102], v[198:199]
	v_dual_mov_b32 v43, v111 :: v_dual_mov_b32 v44, v112
	v_fma_f64 v[105:106], v[162:163], v[69:70], v[206:207]
	s_waitcnt lgkmcnt(0)
	v_add_f64 v[63:64], v[89:90], v[122:123]
	v_add_f64 v[85:86], v[200:201], -v[184:185]
	v_add_f64 v[132:133], v[126:127], -v[87:88]
	scratch_store_b64 off, v[15:16], off offset:216 ; 8-byte Folded Spill
	v_fma_f64 v[15:16], v[170:171], v[65:66], v[83:84]
	v_fma_f64 v[136:137], v[156:157], v[1:2], -v[144:145]
	v_dual_mov_b32 v76, v48 :: v_dual_mov_b32 v75, v47
	v_dual_mov_b32 v74, v52 :: v_dual_mov_b32 v73, v51
	v_mul_f64 v[146:147], v[85:86], s[54:55]
	v_mul_f64 v[156:157], v[85:86], s[56:57]
	;; [unrolled: 1-line block ×3, first 2 shown]
	scratch_store_b64 off, v[15:16], off offset:224 ; 8-byte Folded Spill
	v_fma_f64 v[15:16], v[172:173], v[65:66], -v[67:68]
	scratch_store_b64 off, v[15:16], off offset:232 ; 8-byte Folded Spill
	v_fma_f64 v[15:16], v[174:175], v[13:14], v[130:131]
	v_fma_f64 v[130:131], v[168:169], v[9:10], -v[134:135]
	v_fma_f64 v[134:135], v[154:155], v[1:2], v[140:141]
	v_fma_f64 v[0:1], v[17:18], v[41:42], -v[180:181]
	v_fma_f64 v[9:10], v[176:177], v[13:14], -v[138:139]
	v_dual_mov_b32 v13, v55 :: v_dual_mov_b32 v14, v56
	v_mul_f64 v[174:175], v[85:86], s[40:41]
	v_mul_f64 v[180:181], v[85:86], s[60:61]
	;; [unrolled: 1-line block ×3, first 2 shown]
	s_clause 0x1
	scratch_store_b64 off, v[13:14], off offset:112
	scratch_store_b64 off, v[0:1], off offset:184
	v_fma_f64 v[0:1], v[19:20], v[41:42], v[182:183]
	v_mul_f64 v[41:42], v[132:133], s[44:45]
	scratch_store_b64 off, v[0:1], off offset:200 ; 8-byte Folded Spill
	v_fma_f64 v[0:1], v[21:22], v[45:46], -v[3:4]
	scratch_store_b64 off, v[0:1], off offset:176 ; 8-byte Folded Spill
	v_fma_f64 v[0:1], v[23:24], v[45:46], v[109:110]
	v_add_f64 v[23:24], v[118:119], v[47:48]
	scratch_store_b64 off, v[0:1], off offset:192 ; 8-byte Folded Spill
	v_fma_f64 v[0:1], v[25:26], v[49:50], -v[188:189]
	scratch_store_b64 off, v[184:185], off offset:160 ; 8-byte Folded Spill
	v_add_f64 v[25:26], v[126:127], v[87:88]
	scratch_store_b64 off, v[0:1], off offset:64 ; 8-byte Folded Spill
	v_fma_f64 v[0:1], v[27:28], v[49:50], v[190:191]
	scratch_store_b64 off, v[15:16], off offset:240 ; 8-byte Folded Spill
	v_mul_f64 v[49:50], v[85:86], s[42:43]
	v_fma_f64 v[15:16], v[160:161], v[5:6], -v[178:179]
	v_mul_f64 v[160:161], v[132:133], s[36:37]
	scratch_store_b64 off, v[0:1], off offset:80 ; 8-byte Folded Spill
	v_fma_f64 v[0:1], v[29:30], v[53:54], -v[7:8]
	v_dual_mov_b32 v29, v59 :: v_dual_mov_b32 v30, v60
	v_add_f64 v[59:60], v[91:92], v[126:127]
	v_mul_f64 v[126:127], v[85:86], s[58:59]
	s_delay_alu instid0(VALU_DEP_3) | instskip(SKIP_4) | instid1(VALU_DEP_1)
	v_add_f64 v[17:18], v[29:30], v[13:14]
	scratch_store_b64 off, v[0:1], off offset:24 ; 8-byte Folded Spill
	v_fma_f64 v[0:1], v[31:32], v[53:54], v[194:195]
	scratch_store_b64 off, v[11:12], off offset:208 ; 8-byte Folded Spill
	v_dual_mov_b32 v11, v95 :: v_dual_mov_b32 v12, v96
	v_add_f64 v[128:129], v[122:123], -v[11:12]
	v_add_f64 v[27:28], v[122:123], v[11:12]
	scratch_store_b64 off, v[0:1], off offset:72 ; 8-byte Folded Spill
	v_fma_f64 v[0:1], v[33:34], v[57:58], -v[196:197]
	scratch_store_b64 off, v[11:12], off offset:40 ; 8-byte Folded Spill
	v_mul_f64 v[140:141], v[128:129], s[56:57]
	v_mul_f64 v[150:151], v[128:129], s[46:47]
	v_mul_f64 v[162:163], v[128:129], s[38:39]
	v_mul_f64 v[166:167], v[128:129], s[40:41]
	v_fma_f64 v[190:191], v[27:28], s[0:1], -v[41:42]
	v_fma_f64 v[226:227], v[27:28], s[24:25], -v[160:161]
	;; [unrolled: 1-line block ×3, first 2 shown]
	v_fma_f64 v[168:169], v[27:28], s[14:15], v[168:169]
	v_fma_f64 v[160:161], v[27:28], s[24:25], v[160:161]
	scratch_store_b64 off, v[0:1], off offset:16 ; 8-byte Folded Spill
	v_fma_f64 v[0:1], v[35:36], v[57:58], v[216:217]
	v_mul_f64 v[35:36], v[85:86], s[46:47]
	v_mul_f64 v[57:58], v[128:129], s[48:49]
	;; [unrolled: 1-line block ×3, first 2 shown]
	v_fma_f64 v[206:207], v[25:26], s[18:19], v[140:141]
	v_fma_f64 v[216:217], v[25:26], s[26:27], v[150:151]
	;; [unrolled: 1-line block ×4, first 2 shown]
	v_fma_f64 v[166:167], v[25:26], s[14:15], -v[166:167]
	v_fma_f64 v[162:163], v[25:26], s[16:17], -v[162:163]
	;; [unrolled: 1-line block ×4, first 2 shown]
	v_add_f64 v[190:191], v[89:90], v[190:191]
	v_add_f64 v[226:227], v[89:90], v[226:227]
	;; [unrolled: 1-line block ×5, first 2 shown]
	scratch_store_b64 off, v[0:1], off offset:56 ; 8-byte Folded Spill
	v_fma_f64 v[0:1], v[37:38], v[61:62], -v[218:219]
	scratch_store_b32 off, v255, off        ; 4-byte Folded Spill
	v_fma_f64 v[254:255], v[124:125], v[81:82], -v[210:211]
	v_add_f64 v[81:82], v[114:115], -v[43:44]
	s_clause 0x1
	scratch_store_b64 off, v[43:44], off offset:120
	scratch_store_b64 off, v[87:88], off offset:32
	v_add_f64 v[124:125], v[186:187], -v[99:100]
	v_fma_f64 v[196:197], v[25:26], s[12:13], v[57:58]
	v_fma_f64 v[57:58], v[25:26], s[12:13], -v[57:58]
	v_add_f64 v[206:207], v[91:92], v[206:207]
	v_add_f64 v[216:217], v[91:92], v[216:217]
	;; [unrolled: 1-line block ×8, first 2 shown]
	v_fma_f64 v[218:219], v[27:28], s[26:27], -v[152:153]
	v_fma_f64 v[152:153], v[27:28], s[26:27], v[152:153]
	scratch_store_b64 off, v[0:1], off offset:8 ; 8-byte Folded Spill
	v_fma_f64 v[0:1], v[39:40], v[61:62], v[208:209]
	s_clause 0x1
	scratch_store_b64 off, v[186:187], off offset:352
	scratch_store_b64 off, v[99:100], off offset:144
	v_mul_f64 v[33:34], v[81:82], s[36:37]
	v_add_f64 v[19:20], v[254:255], v[73:74]
	v_mul_f64 v[45:46], v[81:82], s[62:63]
	v_mul_f64 v[122:123], v[81:82], s[52:53]
	;; [unrolled: 1-line block ×9, first 2 shown]
	v_fma_f64 v[186:187], v[148:149], v[101:102], -v[202:203]
	v_fma_f64 v[101:102], v[164:165], v[69:70], -v[71:72]
	v_mul_f64 v[53:54], v[124:125], s[38:39]
	v_mul_f64 v[61:62], v[132:133], s[48:49]
	;; [unrolled: 1-line block ×9, first 2 shown]
	v_add_f64 v[196:197], v[91:92], v[196:197]
	v_add_f64 v[77:78], v[91:92], v[57:58]
	;; [unrolled: 1-line block ×4, first 2 shown]
	scratch_store_b64 off, v[0:1], off offset:48 ; 8-byte Folded Spill
	v_fma_f64 v[0:1], v[17:18], s[24:25], v[33:34]
	scratch_store_b64 off, v[75:76], off offset:136 ; 8-byte Folded Spill
	v_fma_f64 v[220:221], v[19:20], s[18:19], v[156:157]
	v_fma_f64 v[242:243], v[19:20], s[14:15], v[174:175]
	;; [unrolled: 1-line block ×4, first 2 shown]
	v_fma_f64 v[116:117], v[19:20], s[12:13], -v[85:86]
	v_fma_f64 v[156:157], v[19:20], s[18:19], -v[156:157]
	;; [unrolled: 1-line block ×3, first 2 shown]
	v_fma_f64 v[188:189], v[25:26], s[0:1], v[39:40]
	v_fma_f64 v[210:211], v[19:20], s[10:11], -v[49:50]
	v_fma_f64 v[222:223], v[19:20], s[26:27], -v[35:36]
	v_fma_f64 v[198:199], v[27:28], s[12:13], -v[61:62]
	v_fma_f64 v[61:62], v[27:28], s[12:13], v[61:62]
	v_fma_f64 v[204:205], v[23:24], s[10:11], v[138:139]
	v_fma_f64 v[230:231], v[27:28], s[16:17], -v[164:165]
	v_fma_f64 v[164:165], v[27:28], s[16:17], v[164:165]
	v_fma_f64 v[214:215], v[23:24], s[24:25], v[148:149]
	v_fma_f64 v[95:96], v[23:24], s[12:13], v[170:171]
	v_fma_f64 v[85:86], v[23:24], s[14:15], v[124:125]
	v_fma_f64 v[244:245], v[23:24], s[0:1], v[176:177]
	v_fma_f64 v[93:94], v[23:24], s[26:27], v[182:183]
	v_fma_f64 v[176:177], v[23:24], s[0:1], -v[176:177]
	v_fma_f64 v[170:171], v[23:24], s[12:13], -v[170:171]
	;; [unrolled: 1-line block ×4, first 2 shown]
	scratch_store_b64 off, v[0:1], off offset:264 ; 8-byte Folded Spill
	v_fma_f64 v[0:1], v[19:20], s[26:27], v[35:36]
	v_add_f64 v[188:189], v[91:92], v[188:189]
	v_add_f64 v[198:199], v[89:90], v[198:199]
	;; [unrolled: 1-line block ×5, first 2 shown]
	scratch_store_b64 off, v[0:1], off offset:392 ; 8-byte Folded Spill
	v_fma_f64 v[0:1], v[17:18], s[14:15], v[45:46]
	s_clause 0x1
	scratch_store_b64 off, v[73:74], off offset:152
	scratch_store_b64 off, v[0:1], off offset:272
	v_fma_f64 v[0:1], v[19:20], s[10:11], v[49:50]
	scratch_store_b64 off, v[0:1], off offset:400 ; 8-byte Folded Spill
	v_fma_f64 v[0:1], v[17:18], s[12:13], v[122:123]
	scratch_store_b64 off, v[9:10], off offset:248 ; 8-byte Folded Spill
	v_fma_f64 v[9:10], v[158:159], v[5:6], v[142:143]
	v_mul_f64 v[158:159], v[128:129], s[36:37]
	v_mul_f64 v[128:129], v[128:129], s[42:43]
	;; [unrolled: 1-line block ×4, first 2 shown]
	scratch_store_b64 off, v[0:1], off offset:280 ; 8-byte Folded Spill
	v_fma_f64 v[0:1], v[19:20], s[24:25], v[126:127]
	v_fma_f64 v[224:225], v[25:26], s[24:25], v[158:159]
	;; [unrolled: 1-line block ×3, first 2 shown]
	v_fma_f64 v[128:129], v[25:26], s[10:11], -v[128:129]
	v_fma_f64 v[158:159], v[25:26], s[24:25], -v[158:159]
	;; [unrolled: 1-line block ×5, first 2 shown]
	v_fma_f64 v[132:133], v[27:28], s[10:11], v[132:133]
	v_fma_f64 v[142:143], v[27:28], s[18:19], v[142:143]
	;; [unrolled: 1-line block ×3, first 2 shown]
	scratch_store_b64 off, v[0:1], off offset:408 ; 8-byte Folded Spill
	v_fma_f64 v[0:1], v[17:18], s[18:19], v[144:145]
	v_add_f64 v[224:225], v[91:92], v[224:225]
	v_add_f64 v[236:237], v[91:92], v[236:237]
	;; [unrolled: 1-line block ×5, first 2 shown]
	v_fma_f64 v[91:92], v[23:24], s[18:19], -v[37:38]
	v_add_f64 v[208:209], v[89:90], v[208:209]
	v_add_f64 v[238:239], v[89:90], v[238:239]
	v_add_f64 v[132:133], v[89:90], v[132:133]
	v_add_f64 v[142:143], v[89:90], v[142:143]
	v_add_f64 v[87:88], v[89:90], v[27:28]
	v_fma_f64 v[89:90], v[23:24], s[16:17], -v[53:54]
	scratch_store_b64 off, v[0:1], off offset:288 ; 8-byte Folded Spill
	v_fma_f64 v[0:1], v[19:20], s[0:1], v[146:147]
	scratch_store_b64 off, v[0:1], off offset:416 ; 8-byte Folded Spill
	v_fma_f64 v[0:1], v[17:18], s[10:11], v[154:155]
	;; [unrolled: 2-line block ×5, first 2 shown]
	scratch_store_b64 off, v[0:1], off offset:384 ; 8-byte Folded Spill
	v_fma_f64 v[0:1], v[17:18], s[16:17], -v[81:82]
	v_dual_mov_b32 v82, v30 :: v_dual_mov_b32 v81, v29
	scratch_store_b64 off, v[0:1], off offset:376 ; 8-byte Folded Spill
	v_fma_f64 v[0:1], v[17:18], s[0:1], -v[178:179]
	v_fma_f64 v[178:179], v[23:24], s[16:17], v[53:54]
	scratch_store_b64 off, v[0:1], off offset:368 ; 8-byte Folded Spill
	v_fma_f64 v[0:1], v[17:18], s[26:27], -v[172:173]
	v_fma_f64 v[172:173], v[23:24], s[14:15], -v[124:125]
	scratch_store_b64 off, v[0:1], off offset:360 ; 8-byte Folded Spill
	v_fma_f64 v[0:1], v[17:18], s[10:11], -v[154:155]
	v_fma_f64 v[154:155], v[19:20], s[0:1], -v[146:147]
	;; [unrolled: 3-line block ×3, first 2 shown]
	v_fma_f64 v[174:175], v[23:24], s[26:27], -v[182:183]
	scratch_store_b64 off, v[0:1], off offset:336 ; 8-byte Folded Spill
	v_fma_f64 v[0:1], v[17:18], s[12:13], -v[122:123]
	v_fma_f64 v[122:123], v[19:20], s[16:17], -v[180:181]
	v_dual_mov_b32 v21, v10 :: v_dual_mov_b32 v20, v9
	v_fma_f64 v[180:181], v[23:24], s[18:19], v[37:38]
	s_delay_alu instid0(VALU_DEP_2)
	v_add_f64 v[37:38], v[134:135], -v[20:21]
	scratch_store_b64 off, v[0:1], off offset:328 ; 8-byte Folded Spill
	v_fma_f64 v[0:1], v[17:18], s[14:15], -v[45:46]
	v_mul_f64 v[124:125], v[37:38], s[48:49]
	v_mul_f64 v[182:183], v[37:38], s[46:47]
	;; [unrolled: 1-line block ×8, first 2 shown]
	scratch_store_b64 off, v[0:1], off offset:320 ; 8-byte Folded Spill
	v_fma_f64 v[0:1], v[17:18], s[24:25], -v[33:34]
	v_dual_mov_b32 v19, v16 :: v_dual_mov_b32 v18, v15
	scratch_store_b64 off, v[200:201], off offset:256 ; 8-byte Folded Spill
	v_add_f64 v[16:17], v[59:60], v[136:137]
	v_add_f64 v[59:60], v[63:64], v[134:135]
	;; [unrolled: 1-line block ×3, first 2 shown]
	s_clause 0x2
	scratch_store_b64 off, v[20:21], off offset:96
	scratch_store_b64 off, v[18:19], off offset:88
	;; [unrolled: 1-line block ×3, first 2 shown]
	v_add_f64 v[0:1], v[136:137], v[18:19]
	v_add_f64 v[16:17], v[16:17], v[118:119]
	s_delay_alu instid0(VALU_DEP_2)
	v_fma_f64 v[22:23], v[0:1], s[12:13], v[124:125]
	v_fma_f64 v[57:58], v[0:1], s[12:13], -v[124:125]
	v_add_f64 v[124:125], v[29:30], -v[13:14]
	v_fma_f64 v[52:53], v[0:1], s[0:1], v[37:38]
	v_fma_f64 v[71:72], v[0:1], s[0:1], -v[37:38]
	v_fma_f64 v[50:51], v[0:1], s[18:19], v[2:3]
	v_fma_f64 v[65:66], v[0:1], s[18:19], -v[2:3]
	v_fma_f64 v[40:41], v[0:1], s[24:25], v[4:5]
	v_fma_f64 v[55:56], v[0:1], s[24:25], -v[4:5]
	v_fma_f64 v[38:39], v[0:1], s[14:15], v[6:7]
	v_fma_f64 v[69:70], v[0:1], s[14:15], -v[6:7]
	v_fma_f64 v[36:37], v[0:1], s[10:11], v[8:9]
	v_fma_f64 v[61:62], v[0:1], s[10:11], -v[8:9]
	v_fma_f64 v[34:35], v[0:1], s[16:17], v[10:11]
	v_fma_f64 v[67:68], v[0:1], s[16:17], -v[10:11]
	v_fma_f64 v[26:27], v[0:1], s[26:27], v[182:183]
	v_fma_f64 v[182:183], v[0:1], s[26:27], -v[182:183]
	v_add_f64 v[0:1], v[114:115], v[43:44]
	v_add_f64 v[16:17], v[16:17], v[254:255]
	;; [unrolled: 1-line block ×3, first 2 shown]
	v_mul_f64 v[14:15], v[124:125], s[36:37]
	v_mul_f64 v[12:13], v[124:125], s[62:63]
	;; [unrolled: 1-line block ×8, first 2 shown]
	v_add_f64 v[38:39], v[38:39], v[224:225]
	v_add_f64 v[36:37], v[36:37], v[216:217]
	;; [unrolled: 1-line block ×9, first 2 shown]
	scratch_load_b64 v[81:82], off, off offset:392 ; 8-byte Folded Reload
	v_add_f64 v[50:51], v[50:51], v[232:233]
	v_add_f64 v[71:72], v[71:72], v[128:129]
	;; [unrolled: 1-line block ×8, first 2 shown]
	v_fma_f64 v[103:104], v[0:1], s[24:25], -v[14:15]
	v_fma_f64 v[107:108], v[0:1], s[14:15], -v[12:13]
	;; [unrolled: 1-line block ×4, first 2 shown]
	v_fma_f64 v[240:241], v[0:1], s[10:11], v[6:7]
	v_fma_f64 v[126:127], v[0:1], s[26:27], -v[4:5]
	v_fma_f64 v[146:147], v[0:1], s[0:1], -v[2:3]
	;; [unrolled: 1-line block ×3, first 2 shown]
	v_fma_f64 v[200:201], v[0:1], s[16:17], v[124:125]
	v_fma_f64 v[202:203], v[0:1], s[0:1], v[2:3]
	;; [unrolled: 1-line block ×3, first 2 shown]
	v_fma_f64 v[124:125], v[0:1], s[10:11], -v[6:7]
	v_fma_f64 v[250:251], v[0:1], s[18:19], v[8:9]
	v_fma_f64 v[252:253], v[0:1], s[12:13], v[10:11]
	;; [unrolled: 1-line block ×4, first 2 shown]
	v_add_f64 v[14:15], v[136:137], -v[18:19]
	v_add_f64 v[77:78], v[89:90], v[77:78]
	v_add_f64 v[26:27], v[178:179], v[26:27]
	;; [unrolled: 1-line block ×5, first 2 shown]
	scratch_load_b64 v[91:92], off, off offset:240 ; 8-byte Folded Reload
	v_add_f64 v[54:55], v[176:177], v[54:55]
	v_add_f64 v[65:66], v[174:175], v[65:66]
	;; [unrolled: 1-line block ×5, first 2 shown]
	s_clause 0x1
	scratch_store_b64 off, v[2:3], off offset:424
	scratch_store_b64 off, v[0:1], off offset:128
	v_mul_f64 v[134:135], v[14:15], s[54:55]
	v_mul_f64 v[136:137], v[14:15], s[50:51]
	;; [unrolled: 1-line block ×8, first 2 shown]
	v_add_f64 v[54:55], v[144:145], v[54:55]
	v_add_f64 v[69:70], v[156:157], v[69:70]
	;; [unrolled: 1-line block ×3, first 2 shown]
	v_fma_f64 v[24:25], v[63:64], s[0:1], -v[134:135]
	v_fma_f64 v[134:135], v[63:64], s[0:1], v[134:135]
	v_fma_f64 v[20:21], v[63:64], s[18:19], -v[136:137]
	v_fma_f64 v[136:137], v[63:64], s[18:19], v[136:137]
	;; [unrolled: 2-line block ×8, first 2 shown]
	v_add_f64 v[63:64], v[118:119], -v[75:76]
	scratch_load_b64 v[75:76], off, off offset:352 ; 8-byte Folded Reload
	v_add_f64 v[24:25], v[24:25], v[238:239]
	v_add_f64 v[128:129], v[134:135], v[132:133]
	;; [unrolled: 1-line block ×16, first 2 shown]
	v_mul_f64 v[188:189], v[63:64], s[38:39]
	v_mul_f64 v[196:197], v[63:64], s[58:59]
	v_mul_f64 v[118:119], v[63:64], s[56:57]
	v_mul_f64 v[190:191], v[63:64], s[64:65]
	v_mul_f64 v[198:199], v[63:64], s[52:53]
	v_mul_f64 v[206:207], v[63:64], s[44:45]
	v_mul_f64 v[208:209], v[63:64], s[46:47]
	v_mul_f64 v[63:64], v[63:64], s[40:41]
	s_waitcnt vmcnt(0)
	v_add_f64 v[216:217], v[75:76], v[99:100]
	v_add_f64 v[59:60], v[59:60], v[75:76]
	scratch_load_b64 v[99:100], off, off offset:248 ; 8-byte Folded Reload
	v_fma_f64 v[2:3], v[216:217], s[16:17], -v[188:189]
	v_fma_f64 v[6:7], v[216:217], s[24:25], -v[196:197]
	;; [unrolled: 1-line block ×4, first 2 shown]
	v_fma_f64 v[190:191], v[216:217], s[10:11], v[190:191]
	v_fma_f64 v[228:229], v[216:217], s[12:13], -v[198:199]
	v_fma_f64 v[198:199], v[216:217], s[12:13], v[198:199]
	v_fma_f64 v[196:197], v[216:217], s[24:25], v[196:197]
	v_fma_f64 v[226:227], v[216:217], s[0:1], -v[206:207]
	v_fma_f64 v[218:219], v[216:217], s[14:15], -v[63:64]
	v_fma_f64 v[63:64], v[216:217], s[14:15], v[63:64]
	v_fma_f64 v[224:225], v[216:217], s[26:27], -v[208:209]
	v_fma_f64 v[118:119], v[216:217], s[18:19], v[118:119]
	v_fma_f64 v[208:209], v[216:217], s[26:27], v[208:209]
	v_fma_f64 v[206:207], v[216:217], s[0:1], v[206:207]
	v_fma_f64 v[188:189], v[216:217], s[16:17], v[188:189]
	v_add_f64 v[2:3], v[2:3], v[44:45]
	scratch_load_b64 v[44:45], off, off offset:256 ; 8-byte Folded Reload
	v_add_f64 v[6:7], v[6:7], v[10:11]
	v_add_f64 v[10:11], v[95:96], v[38:39]
	;; [unrolled: 1-line block ×3, first 2 shown]
	v_add_f64 v[40:41], v[254:255], -v[73:74]
	v_add_f64 v[0:1], v[0:1], v[42:43]
	v_add_f64 v[48:49], v[190:191], v[48:49]
	;; [unrolled: 1-line block ×7, first 2 shown]
	s_clause 0x1
	scratch_load_b32 v254, off, off offset:172
	scratch_load_b64 v[95:96], off, off offset:208
	v_add_f64 v[20:21], v[224:225], v[20:21]
	v_add_f64 v[14:15], v[118:119], v[14:15]
	;; [unrolled: 1-line block ×8, first 2 shown]
	v_mul_f64 v[87:88], v[40:41], s[58:59]
	v_mul_f64 v[75:76], v[40:41], s[56:57]
	;; [unrolled: 1-line block ×6, first 2 shown]
	s_waitcnt vmcnt(2)
	v_add_f64 v[42:43], v[59:60], v[44:45]
	v_add_f64 v[44:45], v[44:45], v[184:185]
	v_mul_f64 v[58:59], v[40:41], s[60:61]
	v_mul_f64 v[40:41], v[40:41], s[46:47]
	v_add_f64 v[60:61], v[148:149], v[61:62]
	v_add_f64 v[42:43], v[42:43], v[114:115]
	v_fma_f64 v[158:159], v[44:45], s[24:25], -v[87:88]
	v_fma_f64 v[87:88], v[44:45], s[24:25], v[87:88]
	v_fma_f64 v[150:151], v[44:45], s[18:19], -v[75:76]
	v_fma_f64 v[75:76], v[44:45], s[18:19], v[75:76]
	;; [unrolled: 2-line block ×8, first 2 shown]
	v_add_f64 v[44:45], v[93:94], v[50:51]
	scratch_load_b64 v[93:94], off, off offset:224 ; 8-byte Folded Reload
	v_add_f64 v[50:51], v[85:86], v[52:53]
	v_add_f64 v[52:53], v[172:173], v[71:72]
	s_waitcnt vmcnt(2)
	v_add_nc_u32_e32 v85, 0x55, v254
	v_add_nc_u32_e32 v86, 0x44, v254
	;; [unrolled: 1-line block ×3, first 2 shown]
	v_dual_mov_b32 v235, v92 :: v_dual_add_nc_u32 v90, 34, v254
	s_delay_alu instid0(VALU_DEP_4) | instskip(SKIP_2) | instid1(VALU_DEP_4)
	v_mul_lo_u32 v85, v113, v85
	v_add_f64 v[60:61], v[154:155], v[60:61]
	v_add_f64 v[71:72], v[208:209], v[132:133]
	v_mul_lo_u32 v224, v113, v90
	v_add_f64 v[170:171], v[97:98], v[91:92]
	v_mov_b32_e32 v234, v91
	v_lshrrev_b32_e32 v164, 4, v85
	v_add_f64 v[42:43], v[42:43], v[97:98]
	v_add_f64 v[4:5], v[158:159], v[4:5]
	;; [unrolled: 1-line block ×7, first 2 shown]
	s_clause 0x1
	scratch_load_b64 v[77:78], off, off offset:264
	scratch_load_b64 v[79:80], off, off offset:272
	v_add_f64 v[46:47], v[46:47], v[63:64]
	v_add_f64 v[64:65], v[122:123], v[65:66]
	;; [unrolled: 1-line block ×5, first 2 shown]
	v_and_b32_e32 v161, 0xff, v85
	v_add_f64 v[0:1], v[134:135], v[0:1]
	v_add_f64 v[18:19], v[142:143], v[18:19]
	v_add_f64 v[44:45], v[248:249], v[44:45]
	v_add_f64 v[20:21], v[140:141], v[20:21]
	v_add_f64 v[50:51], v[111:112], v[50:51]
	v_add_f64 v[52:53], v[116:117], v[52:53]
	v_add_f64 v[30:31], v[73:74], v[30:31]
	v_add_f64 v[8:9], v[162:163], v[8:9]
	v_add_f64 v[166:167], v[40:41], v[14:15]
	v_add_f64 v[14:15], v[16:17], v[101:102]
	v_add_f64 v[24:25], v[136:137], v[24:25]
	s_waitcnt vmcnt(3)
	v_add_f64 v[136:137], v[246:247], v[95:96]
	v_lshlrev_b32_e32 v229, 4, v161
	v_add_f64 v[58:59], v[58:59], v[71:72]
	v_and_or_b32 v230, v164, s23, 0x1000
	v_add_f64 v[16:17], v[42:43], v[105:106]
	v_add_f64 v[4:5], v[109:110], v[4:5]
	;; [unrolled: 1-line block ×3, first 2 shown]
	scratch_load_b64 v[48:49], off, off offset:320 ; 8-byte Folded Reload
	v_add_f64 v[22:23], v[81:82], v[22:23]
	scratch_load_b64 v[81:82], off, off offset:400 ; 8-byte Folded Reload
	v_add_f64 v[12:13], v[124:125], v[12:13]
	v_add_f64 v[28:29], v[240:241], v[28:29]
	v_add_f64 v[32:33], v[250:251], v[32:33]
	v_add_f64 v[46:47], v[200:201], v[46:47]
	v_add_f64 v[6:7], v[120:121], v[6:7]
	v_add_f64 v[2:3], v[107:108], v[2:3]
	v_add_f64 v[0:1], v[103:104], v[0:1]
	v_add_f64 v[18:19], v[126:127], v[18:19]
	v_add_f64 v[20:21], v[146:147], v[20:21]
	v_add_f64 v[30:31], v[212:213], v[30:31]
	v_add_f64 v[14:15], v[14:15], v[186:187]
	v_add_f64 v[24:25], v[192:193], v[24:25]
	v_add_f64 v[58:59], v[202:203], v[58:59]
	v_add_f64 v[16:17], v[16:17], v[246:247]
	s_waitcnt vmcnt(4)
	v_mov_b32_e32 v237, v94
	v_mul_lo_u32 v86, v113, v86
	v_mov_b32_e32 v236, v93
	v_mul_lo_u32 v89, v113, v89
	v_add_f64 v[71:72], v[105:106], -v[93:94]
	v_add_f64 v[140:141], v[105:106], v[93:94]
	v_and_b32_e32 v165, 0xff, v86
	v_lshrrev_b32_e32 v168, 4, v86
	scratch_load_b64 v[85:86], off, off offset:232 ; 8-byte Folded Reload
	v_dual_mov_b32 v239, v100 :: v_dual_add_nc_u32 v62, 0xaa, v254
	v_and_b32_e32 v169, 0xff, v89
	v_lshrrev_b32_e32 v220, 4, v89
	v_dual_mov_b32 v238, v99 :: v_dual_add_nc_u32 v83, 0x77, v254
	s_delay_alu instid0(VALU_DEP_4) | instskip(SKIP_2) | instid1(VALU_DEP_4)
	v_mul_lo_u32 v62, v113, v62
	v_add_f64 v[176:177], v[130:131], v[99:100]
	v_lshlrev_b32_e32 v231, 4, v165
	v_mul_lo_u32 v118, v113, v83
	v_and_or_b32 v232, v168, s23, 0x1000
	v_lshlrev_b32_e32 v233, 4, v169
	v_and_b32_e32 v90, 0xff, v62
	v_lshrrev_b32_e32 v128, 4, v62
	v_add_f64 v[62:63], v[130:131], -v[99:100]
	s_waitcnt vmcnt(4)
	v_add_f64 v[22:23], v[77:78], v[22:23]
	v_mov_b32_e32 v131, v96
	v_lshlrev_b32_e32 v221, 4, v90
	scratch_load_b64 v[89:90], off, off offset:216 ; 8-byte Folded Reload
	v_add_nc_u32_e32 v84, 0x66, v254
	v_and_b32_e32 v153, 0xff, v118
	v_lshrrev_b32_e32 v158, 4, v118
	v_mov_b32_e32 v130, v95
	v_and_or_b32 v128, v128, s23, 0x1000
	s_delay_alu instid0(VALU_DEP_4) | instskip(NEXT) | instid1(VALU_DEP_4)
	v_lshlrev_b32_e32 v222, 4, v153
	v_and_or_b32 v223, v158, s23, 0x1000
	v_mul_f64 v[182:183], v[71:72], s[40:41]
	v_mul_f64 v[184:185], v[71:72], s[46:47]
	s_waitcnt vmcnt(3)
	v_add_f64 v[226:227], v[48:49], v[75:76]
	scratch_load_b64 v[75:76], off, off offset:424 ; 8-byte Folded Reload
	s_waitcnt vmcnt(3)
	v_add_f64 v[26:27], v[81:82], v[26:27]
	scratch_load_b64 v[81:82], off, off offset:408 ; 8-byte Folded Reload
	v_mul_f64 v[172:173], v[62:63], s[38:39]
	v_mul_f64 v[87:88], v[62:63], s[40:41]
	;; [unrolled: 1-line block ×4, first 2 shown]
	v_add_f64 v[26:27], v[79:80], v[26:27]
	scratch_load_b64 v[79:80], off, off offset:280 ; 8-byte Folded Reload
	v_fma_f64 v[105:106], v[170:171], s[16:17], -v[172:173]
	v_fma_f64 v[109:110], v[170:171], s[24:25], -v[40:41]
	;; [unrolled: 1-line block ×3, first 2 shown]
	v_fma_f64 v[244:245], v[170:171], s[24:25], v[40:41]
	s_delay_alu instid0(VALU_DEP_4) | instskip(NEXT) | instid1(VALU_DEP_4)
	v_add_f64 v[0:1], v[105:106], v[0:1]
	v_add_f64 v[2:3], v[109:110], v[2:3]
	s_delay_alu instid0(VALU_DEP_4)
	v_add_f64 v[4:5], v[114:115], v[4:5]
	s_waitcnt vmcnt(4)
	v_mov_b32_e32 v243, v86
	v_add_f64 v[73:74], v[101:102], -v[85:86]
	v_add_f64 v[174:175], v[101:102], v[85:86]
	v_mov_b32_e32 v242, v85
	v_mul_f64 v[101:102], v[62:63], s[42:43]
	s_waitcnt vmcnt(3)
	v_mov_b32_e32 v155, v90
	v_mul_lo_u32 v119, v113, v84
	v_add_f64 v[83:84], v[97:98], -v[91:92]
	v_add_f64 v[134:135], v[186:187], v[89:90]
	v_add_f64 v[142:143], v[186:187], -v[89:90]
	v_mov_b32_e32 v154, v89
	v_mul_f64 v[97:98], v[62:63], s[48:49]
	v_mul_f64 v[91:92], v[62:63], s[28:29]
	;; [unrolled: 1-line block ×3, first 2 shown]
	v_and_b32_e32 v159, 0xff, v119
	v_lshrrev_b32_e32 v160, 4, v119
	v_fma_f64 v[118:119], v[170:171], s[14:15], -v[87:88]
	v_fma_f64 v[87:88], v[170:171], s[14:15], v[87:88]
	s_delay_alu instid0(VALU_DEP_4) | instskip(NEXT) | instid1(VALU_DEP_4)
	v_lshlrev_b32_e32 v225, 4, v159
	v_and_or_b32 v228, v160, s23, 0x1000
	v_mul_f64 v[208:209], v[73:74], s[40:41]
	v_mul_f64 v[156:157], v[73:74], s[50:51]
	;; [unrolled: 1-line block ×3, first 2 shown]
	v_fma_f64 v[120:121], v[170:171], s[10:11], -v[101:102]
	v_fma_f64 v[101:102], v[170:171], s[10:11], v[101:102]
	v_mul_f64 v[196:197], v[73:74], s[44:45]
	v_mul_f64 v[126:127], v[73:74], s[52:53]
	s_waitcnt vmcnt(2)
	v_add_f64 v[240:241], v[75:76], v[8:9]
	v_mul_f64 v[75:76], v[71:72], s[60:61]
	s_waitcnt vmcnt(1)
	v_add_f64 v[34:35], v[81:82], v[34:35]
	scratch_load_b64 v[81:82], off, off offset:416 ; 8-byte Folded Reload
	v_mul_f64 v[178:179], v[83:84], s[38:39]
	v_mul_f64 v[77:78], v[83:84], s[40:41]
	v_mul_f64 v[89:90], v[83:84], s[28:29]
	v_mul_f64 v[56:57], v[83:84], s[58:59]
	v_mul_f64 v[85:86], v[83:84], s[44:45]
	v_mul_f64 v[93:94], v[83:84], s[48:49]
	v_mul_f64 v[99:100], v[83:84], s[42:43]
	v_mul_f64 v[83:84], v[83:84], s[50:51]
	v_fma_f64 v[48:49], v[170:171], s[12:13], -v[97:98]
	v_fma_f64 v[124:125], v[170:171], s[26:27], -v[91:92]
	;; [unrolled: 1-line block ×3, first 2 shown]
	v_fma_f64 v[62:63], v[170:171], s[18:19], v[62:63]
	v_add_f64 v[6:7], v[118:119], v[6:7]
	v_mul_f64 v[144:145], v[142:143], s[42:43]
	v_mul_f64 v[150:151], v[142:143], s[54:55]
	v_fma_f64 v[97:98], v[170:171], s[12:13], v[97:98]
	v_fma_f64 v[109:110], v[140:141], s[14:15], -v[208:209]
	v_fma_f64 v[114:115], v[140:141], s[18:19], -v[156:157]
	v_fma_f64 v[91:92], v[170:171], s[26:27], v[91:92]
	v_add_f64 v[20:21], v[120:121], v[20:21]
	v_add_f64 v[58:59], v[101:102], v[58:59]
	;; [unrolled: 1-line block ×3, first 2 shown]
	v_fma_f64 v[120:121], v[174:175], s[26:27], v[184:185]
	v_mul_f64 v[188:189], v[142:143], s[40:41]
	v_mul_f64 v[194:195], v[142:143], s[52:53]
	;; [unrolled: 1-line block ×4, first 2 shown]
	s_waitcnt vmcnt(1)
	v_add_f64 v[34:35], v[79:80], v[34:35]
	scratch_load_b64 v[79:80], off, off offset:288 ; 8-byte Folded Reload
	v_fma_f64 v[103:104], v[176:177], s[16:17], v[178:179]
	v_fma_f64 v[116:117], v[176:177], s[14:15], v[77:78]
	;; [unrolled: 1-line block ×3, first 2 shown]
	v_fma_f64 v[89:90], v[176:177], s[26:27], -v[89:90]
	v_fma_f64 v[107:108], v[176:177], s[24:25], v[56:57]
	v_fma_f64 v[111:112], v[176:177], s[0:1], v[85:86]
	;; [unrolled: 1-line block ×3, first 2 shown]
	v_fma_f64 v[99:100], v[176:177], s[10:11], -v[99:100]
	v_add_f64 v[18:19], v[48:49], v[18:19]
	v_mul_f64 v[48:49], v[71:72], s[52:53]
	v_add_f64 v[24:25], v[105:106], v[24:25]
	v_add_f64 v[46:47], v[62:63], v[46:47]
	v_fma_f64 v[200:201], v[176:177], s[24:25], -v[56:57]
	v_fma_f64 v[105:106], v[174:175], s[16:17], v[75:76]
	v_add_f64 v[30:31], v[97:98], v[30:31]
	v_add_f64 v[0:1], v[109:110], v[0:1]
	v_fma_f64 v[109:110], v[136:137], s[10:11], -v[144:145]
	v_add_f64 v[2:3], v[114:115], v[2:3]
	v_fma_f64 v[114:115], v[136:137], s[0:1], -v[150:151]
	v_fma_f64 v[150:151], v[136:137], s[0:1], v[150:151]
	v_add_f64 v[22:23], v[103:104], v[22:23]
	v_fma_f64 v[103:104], v[176:177], s[18:19], v[83:84]
	v_fma_f64 v[83:84], v[176:177], s[18:19], -v[83:84]
	v_add_f64 v[26:27], v[107:108], v[26:27]
	v_fma_f64 v[107:108], v[174:175], s[14:15], v[182:183]
	v_add_f64 v[34:35], v[111:112], v[34:35]
	v_fma_f64 v[87:88], v[174:175], s[12:13], v[48:49]
	v_fma_f64 v[48:49], v[174:175], s[12:13], -v[48:49]
	v_add_f64 v[0:1], v[109:110], v[0:1]
	v_add_f64 v[101:102], v[114:115], v[2:3]
	;; [unrolled: 1-line block ×4, first 2 shown]
	s_waitcnt vmcnt(1)
	v_add_f64 v[36:37], v[81:82], v[36:37]
	v_add_nc_u32_e32 v81, 0x99, v254
	v_add_nc_u32_e32 v82, 0x88, v254
	s_delay_alu instid0(VALU_DEP_2) | instskip(NEXT) | instid1(VALU_DEP_2)
	v_mul_lo_u32 v81, v113, v81
	v_mul_lo_u32 v82, v113, v82
	s_delay_alu instid0(VALU_DEP_2) | instskip(NEXT) | instid1(VALU_DEP_2)
	v_and_b32_e32 v129, 0xff, v81
	v_and_b32_e32 v133, 0xff, v82
	v_lshrrev_b32_e32 v132, 4, v81
	v_lshrrev_b32_e32 v152, 4, v82
	v_add_f64 v[81:82], v[246:247], -v[95:96]
	v_mul_f64 v[95:96], v[71:72], s[50:51]
	s_waitcnt vmcnt(0)
	v_add_f64 v[36:37], v[79:80], v[36:37]
	scratch_load_b64 v[79:80], off, off offset:296 ; 8-byte Folded Reload
	v_mul_f64 v[138:139], v[81:82], s[42:43]
	v_mul_f64 v[148:149], v[81:82], s[54:55]
	v_fma_f64 v[111:112], v[174:175], s[18:19], v[95:96]
	v_mul_f64 v[186:187], v[81:82], s[40:41]
	v_mul_f64 v[202:203], v[81:82], s[50:51]
	;; [unrolled: 1-line block ×5, first 2 shown]
	v_add_f64 v[36:37], v[116:117], v[36:37]
	v_mul_f64 v[116:117], v[71:72], s[44:45]
	v_fma_f64 v[107:108], v[134:135], s[10:11], v[138:139]
	v_fma_f64 v[138:139], v[134:135], s[10:11], -v[138:139]
	v_add_f64 v[26:27], v[111:112], v[26:27]
	v_fma_f64 v[111:112], v[134:135], s[0:1], v[148:149]
	v_fma_f64 v[148:149], v[134:135], s[0:1], -v[148:149]
	v_fma_f64 v[114:115], v[134:135], s[24:25], v[212:213]
	v_add_f64 v[36:37], v[105:106], v[36:37]
	v_fma_f64 v[32:33], v[174:175], s[0:1], v[116:117]
	v_fma_f64 v[105:106], v[134:135], s[16:17], v[198:199]
	v_fma_f64 v[198:199], v[134:135], s[16:17], -v[198:199]
	v_add_f64 v[97:98], v[107:108], v[22:23]
	v_fma_f64 v[22:23], v[140:141], s[12:13], -v[126:127]
	s_delay_alu instid0(VALU_DEP_1)
	v_add_f64 v[109:110], v[22:23], v[20:21]
	s_waitcnt vmcnt(0)
	v_add_f64 v[10:11], v[79:80], v[10:11]
	scratch_load_b64 v[79:80], off, off offset:312 ; 8-byte Folded Reload
	v_add_f64 v[118:119], v[122:123], v[10:11]
	v_mul_f64 v[122:123], v[71:72], s[42:43]
	v_add_f64 v[11:12], v[124:125], v[12:13]
	v_add_f64 v[13:14], v[14:15], v[154:155]
	;; [unrolled: 1-line block ×3, first 2 shown]
	v_and_or_b32 v131, v152, s23, 0x1000
	v_fma_f64 v[124:125], v[176:177], s[14:15], -v[77:78]
	v_mul_f64 v[77:78], v[142:143], s[38:39]
	v_lshlrev_b32_e32 v130, 4, v133
	s_waitcnt vmcnt(0)
	v_add_f64 v[38:39], v[79:80], v[38:39]
	scratch_load_b64 v[79:80], off, off offset:304 ; 8-byte Folded Reload
	s_waitcnt vmcnt(0)
	v_add_f64 v[44:45], v[79:80], v[44:45]
	scratch_load_b64 v[79:80], off, off offset:384 ; 8-byte Folded Reload
	v_add_f64 v[44:45], v[8:9], v[44:45]
	v_mul_f64 v[9:10], v[81:82], s[52:53]
	v_fma_f64 v[81:82], v[174:175], s[10:11], -v[122:123]
	v_lshlrev_b32_e32 v8, 4, v129
	s_delay_alu instid0(VALU_DEP_4)
	v_add_f64 v[107:108], v[87:88], v[44:45]
	v_fma_f64 v[44:45], v[136:137], s[16:17], -v[77:78]
	v_fma_f64 v[87:88], v[134:135], s[18:19], v[202:203]
	v_fma_f64 v[77:78], v[136:137], s[16:17], v[77:78]
	s_waitcnt vmcnt(0)
	v_add_f64 v[50:51], v[79:80], v[50:51]
	scratch_load_b64 v[79:80], off, off offset:376 ; 8-byte Folded Reload
	v_add_f64 v[50:51], v[103:104], v[50:51]
	s_waitcnt vmcnt(0)
	v_add_f64 v[52:53], v[79:80], v[52:53]
	scratch_load_b64 v[79:80], off, off offset:368 ; 8-byte Folded Reload
	v_add_f64 v[52:53], v[83:84], v[52:53]
	;; [unrolled: 4-line block ×3, first 2 shown]
	v_add_f64 v[99:100], v[111:112], v[26:27]
	s_delay_alu instid0(VALU_DEP_2)
	v_add_f64 v[160:161], v[48:49], v[62:63]
	s_waitcnt vmcnt(0)
	v_add_f64 v[54:55], v[79:80], v[54:55]
	scratch_load_b64 v[79:80], off, off offset:344 ; 8-byte Folded Reload
	s_waitcnt vmcnt(0)
	v_add_f64 v[68:69], v[79:80], v[69:70]
	scratch_load_b64 v[79:80], off, off offset:336 ; 8-byte Folded Reload
	v_mul_f64 v[70:71], v[71:72], s[36:37]
	v_add_f64 v[64:65], v[89:90], v[68:69]
	v_fma_f64 v[68:69], v[174:175], s[10:11], v[122:123]
	s_delay_alu instid0(VALU_DEP_3) | instskip(SKIP_3) | instid1(VALU_DEP_4)
	v_fma_f64 v[89:90], v[174:175], s[24:25], v[70:71]
	v_fma_f64 v[70:71], v[174:175], s[24:25], -v[70:71]
	v_fma_f64 v[122:123], v[176:177], s[0:1], -v[85:86]
	v_add_f64 v[85:86], v[114:115], v[107:108]
	v_add_f64 v[111:112], v[89:90], v[50:51]
	s_delay_alu instid0(VALU_DEP_4)
	v_add_f64 v[152:153], v[70:71], v[52:53]
	v_add_f64 v[70:71], v[13:14], v[242:243]
	v_fma_f64 v[50:51], v[136:137], s[18:19], -v[204:205]
	v_fma_f64 v[52:53], v[136:137], s[24:25], -v[214:215]
	v_and_or_b32 v242, v220, s23, 0x1000
	scratch_load_b64 v[13:14], off, off offset:200 ; 8-byte Folded Reload
	s_waitcnt vmcnt(1)
	v_add_f64 v[60:61], v[79:80], v[60:61]
	scratch_load_b64 v[79:80], off, off offset:328 ; 8-byte Folded Reload
	v_add_f64 v[146:147], v[124:125], v[60:61]
	v_fma_f64 v[60:61], v[140:141], s[0:1], -v[196:197]
	v_fma_f64 v[124:125], v[170:171], s[0:1], v[42:43]
	s_delay_alu instid0(VALU_DEP_2)
	v_add_f64 v[11:12], v[60:61], v[11:12]
	v_fma_f64 v[60:61], v[134:135], s[12:13], v[9:10]
	v_fma_f64 v[9:10], v[134:135], s[12:13], -v[9:10]
	s_waitcnt vmcnt(0)
	v_add_f64 v[192:193], v[79:80], v[66:67]
	v_fma_f64 v[66:67], v[176:177], s[12:13], v[93:94]
	v_mul_f64 v[79:80], v[73:74], s[46:47]
	v_fma_f64 v[93:94], v[176:177], s[12:13], -v[93:94]
	s_delay_alu instid0(VALU_DEP_3) | instskip(SKIP_2) | instid1(VALU_DEP_4)
	v_add_f64 v[38:39], v[66:67], v[38:39]
	v_mul_f64 v[66:67], v[73:74], s[42:43]
	v_mul_f64 v[72:73], v[73:74], s[36:37]
	v_add_f64 v[54:55], v[93:94], v[54:55]
	v_add_f64 v[93:94], v[91:92], v[28:29]
	v_fma_f64 v[91:92], v[174:175], s[0:1], -v[116:117]
	v_add_f64 v[116:117], v[15:16], v[236:237]
	v_fma_f64 v[103:104], v[140:141], s[26:27], -v[79:80]
	v_fma_f64 v[28:29], v[140:141], s[16:17], -v[190:191]
	v_and_or_b32 v74, v132, s23, 0x1000
	v_add_f64 v[236:237], v[70:71], v[238:239]
	v_fma_f64 v[79:80], v[140:141], s[26:27], v[79:80]
	v_add_f64 v[38:39], v[68:69], v[38:39]
	v_fma_f64 v[83:84], v[140:141], s[10:11], -v[66:67]
	v_fma_f64 v[26:27], v[140:141], s[24:25], -v[72:73]
	v_fma_f64 v[2:3], v[140:141], s[24:25], v[72:73]
	v_fma_f64 v[72:73], v[140:141], s[12:13], v[126:127]
	;; [unrolled: 1-line block ×3, first 2 shown]
	v_fma_f64 v[68:69], v[136:137], s[12:13], -v[194:195]
	v_add_f64 v[4:5], v[103:104], v[4:5]
	v_add_f64 v[6:7], v[28:29], v[6:7]
	v_fma_f64 v[28:29], v[134:135], s[14:15], v[186:187]
	v_add_f64 v[103:104], v[32:33], v[118:119]
	v_fma_f64 v[32:33], v[136:137], s[14:15], -v[188:189]
	v_add_f64 v[162:163], v[81:82], v[54:55]
	v_add_f64 v[164:165], v[91:92], v[64:65]
	v_add_f64 v[126:127], v[60:61], v[36:37]
	v_add_f64 v[91:92], v[44:45], v[11:12]
	v_and_b32_e32 v11, 0xff, v224
	v_lshrrev_b32_e32 v12, 4, v224
	v_add_f64 v[238:239], v[116:117], v[234:235]
	v_fma_f64 v[234:235], v[174:175], s[16:17], -v[75:76]
	v_fma_f64 v[115:116], v[140:141], s[0:1], v[196:197]
	v_fma_f64 v[186:187], v[134:135], s[14:15], -v[186:187]
	v_and_or_b32 v243, v12, s23, 0x1000
	v_fma_f64 v[196:197], v[136:137], s[18:19], v[204:205]
	v_fma_f64 v[194:195], v[136:137], s[12:13], v[194:195]
	;; [unrolled: 1-line block ×3, first 2 shown]
	v_add_f64 v[87:88], v[87:88], v[38:39]
	v_add_f64 v[83:84], v[83:84], v[18:19]
	;; [unrolled: 1-line block ×5, first 2 shown]
	v_mul_f64 v[58:59], v[0:1], v[13:14]
	v_mul_f64 v[72:73], v[97:98], v[13:14]
	s_clause 0x1
	global_load_b128 v[13:16], v221, s[8:9]
	global_load_b128 v[17:20], v128, s[8:9]
	scratch_load_b64 v[21:22], off, off offset:192 ; 8-byte Folded Reload
	v_add_f64 v[168:169], v[66:67], v[30:31]
	v_add_f64 v[220:221], v[28:29], v[34:35]
	;; [unrolled: 1-line block ×4, first 2 shown]
	v_fma_f64 v[2:3], v[134:135], s[26:27], v[218:219]
	v_add_f64 v[146:147], v[234:235], v[146:147]
	v_add_f64 v[93:94], v[115:116], v[93:94]
	;; [unrolled: 1-line block ×4, first 2 shown]
	v_mul_f64 v[109:110], v[142:143], s[28:29]
	v_add_f64 v[81:82], v[2:3], v[111:112]
	s_waitcnt vmcnt(0)
	v_mul_f64 v[118:119], v[101:102], v[21:22]
	v_mul_f64 v[120:121], v[99:100], v[21:22]
	s_clause 0x9
	global_load_b128 v[21:24], v8, s[8:9]
	global_load_b128 v[25:28], v74, s[8:9]
	;; [unrolled: 1-line block ×10, first 2 shown]
	scratch_load_b64 v[5:6], off, off offset:184 ; 8-byte Folded Reload
	v_fma_f64 v[222:223], v[174:175], s[26:27], -v[184:185]
	v_fma_f64 v[224:225], v[174:175], s[18:19], -v[95:96]
	;; [unrolled: 1-line block ×3, first 2 shown]
	v_add_f64 v[130:131], v[105:106], v[103:104]
	v_add_f64 v[228:229], v[122:123], v[192:193]
	v_fma_f64 v[192:193], v[134:135], s[18:19], -v[202:203]
	s_delay_alu instid0(VALU_DEP_2)
	v_add_f64 v[204:205], v[222:223], v[228:229]
	s_waitcnt vmcnt(7)
	v_mul_f64 v[115:116], v[29:30], v[35:36]
	v_mul_f64 v[35:36], v[31:32], v[35:36]
	s_waitcnt vmcnt(3)
	v_mul_f64 v[202:203], v[45:46], v[51:52]
	s_waitcnt vmcnt(0)
	v_fma_f64 v[3:4], v[97:98], v[5:6], -v[58:59]
	v_fma_f64 v[1:2], v[0:1], v[5:6], v[72:73]
	s_clause 0x1
	global_load_b128 v[57:60], v231, s[8:9]
	global_load_b128 v[65:68], v232, s[8:9]
	scratch_load_b64 v[5:6], off, off offset:176 ; 8-byte Folded Reload
	v_add_nc_u32_e32 v0, 17, v254
	v_add_f64 v[230:231], v[200:201], v[226:227]
	v_add_f64 v[226:227], v[244:245], v[240:241]
	s_clause 0x1
	global_load_b128 v[69:72], v233, s[8:9]
	global_load_b128 v[73:76], v242, s[8:9]
	v_lshlrev_b32_e32 v242, 4, v11
	v_mul_lo_u32 v0, v113, v0
	s_clause 0x1
	global_load_b128 v[246:249], v242, s[8:9]
	global_load_b128 v[250:253], v243, s[8:9]
	v_fma_f64 v[97:98], v[176:177], s[16:17], -v[178:179]
	v_add_f64 v[232:233], v[124:125], v[210:211]
	v_fma_f64 v[123:124], v[134:135], s[24:25], -v[212:213]
	v_and_b32_e32 v244, 0xff, v0
	v_lshrrev_b32_e32 v245, 4, v0
	v_mul_lo_u32 v0, v113, v254
	v_mul_f64 v[113:114], v[13:14], v[19:20]
	v_mul_f64 v[19:20], v[15:16], v[19:20]
	v_lshlrev_b32_e32 v11, 4, v244
	v_and_or_b32 v12, v245, s23, 0x1000
	v_and_b32_e32 v103, 0xff, v0
	v_lshrrev_b32_e32 v0, 4, v0
	s_delay_alu instid0(VALU_DEP_2) | instskip(NEXT) | instid1(VALU_DEP_2)
	v_lshlrev_b32_e32 v107, 4, v103
	v_and_or_b32 v0, v0, s23, 0x1000
	v_add_f64 v[210:211], v[224:225], v[230:231]
	v_add_f64 v[79:80], v[79:80], v[232:233]
	;; [unrolled: 1-line block ×3, first 2 shown]
	v_fma_f64 v[15:16], v[15:16], v[17:18], v[113:114]
	s_waitcnt vmcnt(4)
	v_fma_f64 v[7:8], v[99:100], v[5:6], -v[118:119]
	v_fma_f64 v[5:6], v[101:102], v[5:6], v[120:121]
	scratch_load_b64 v[99:100], off, off offset:104 ; 8-byte Folded Reload
	v_fma_f64 v[101:102], v[170:171], s[16:17], v[172:173]
	s_clause 0x1
	global_load_b128 v[170:173], v11, s[8:9]
	global_load_b128 v[174:177], v12, s[8:9]
	scratch_load_b64 v[11:12], off, off offset:128 ; 8-byte Folded Reload
	v_fma_f64 v[117:118], v[140:141], s[16:17], v[190:191]
	v_mul_f64 v[190:191], v[37:38], v[43:44]
	s_waitcnt vmcnt(6)
	v_mul_f64 v[212:213], v[69:70], v[75:76]
	scratch_load_b64 v[105:106], off, off offset:120 ; 8-byte Folded Reload
	v_add_f64 v[200:201], v[117:118], v[206:207]
	v_mul_f64 v[206:207], v[53:54], v[63:64]
	v_add_f64 v[117:118], v[196:197], v[168:169]
	v_mul_f64 v[168:169], v[59:60], v[67:68]
	s_waitcnt vmcnt(4)
	v_add_f64 v[99:100], v[99:100], v[180:181]
	s_waitcnt vmcnt(1)
	v_add_f64 v[103:104], v[11:12], v[166:167]
	scratch_load_b64 v[11:12], off, off offset:112 ; 8-byte Folded Reload
	s_waitcnt vmcnt(1)
	v_add_f64 v[105:106], v[238:239], v[105:106]
	v_add_f64 v[97:98], v[97:98], v[99:100]
	v_fma_f64 v[99:100], v[140:141], s[18:19], v[156:157]
	v_add_f64 v[101:102], v[101:102], v[103:104]
	s_delay_alu instid0(VALU_DEP_2)
	v_add_f64 v[99:100], v[99:100], v[226:227]
	s_waitcnt vmcnt(0)
	v_add_f64 v[11:12], v[236:237], v[11:12]
	s_clause 0x1
	global_load_b128 v[178:181], v107, s[8:9]
	global_load_b128 v[236:239], v0, s[8:9]
	s_clause 0x5
	scratch_load_b64 v[107:108], off, off offset:160
	scratch_load_b64 v[119:120], off, off offset:80
	;; [unrolled: 1-line block ×6, first 2 shown]
	s_mul_i32 s8, s31, s22
	s_mul_hi_u32 s9, s30, s22
	scratch_load_b64 v[113:114], off, off offset:136 ; 8-byte Folded Reload
	s_add_i32 s9, s9, s8
	s_mul_i32 s8, s30, s22
	scratch_load_b32 v0, off, off offset:168 ; 4-byte Folded Reload
	s_lshl_b64 s[0:1], s[8:9], 4
	s_delay_alu instid0(SALU_CYCLE_1) | instskip(SKIP_2) | instid1(SALU_CYCLE_1)
	s_add_u32 s2, s2, s0
	s_addc_u32 s3, s3, s1
	s_lshl_b64 s[0:1], s[20:21], 4
	s_add_u32 s0, s2, s0
	s_addc_u32 s1, s3, s1
	s_waitcnt vmcnt(7)
	v_add_f64 v[105:106], v[105:106], v[107:108]
	s_waitcnt vmcnt(6)
	v_mul_f64 v[107:108], v[132:133], v[119:120]
	v_mul_f64 v[119:120], v[220:221], v[119:120]
	s_waitcnt vmcnt(4)
	v_add_f64 v[111:112], v[11:12], v[111:112]
	s_waitcnt vmcnt(2)
	v_mul_f64 v[184:185], v[91:92], v[121:122]
	v_mul_f64 v[156:157], v[130:131], v[121:122]
	v_fma_f64 v[121:122], v[134:135], s[26:27], -v[218:219]
	v_mul_f64 v[218:219], v[23:24], v[27:28]
	v_add_f64 v[103:104], v[105:106], v[103:104]
	v_fma_f64 v[11:12], v[220:221], v[240:241], -v[107:108]
	scratch_load_b64 v[107:108], off, off offset:72 ; 8-byte Folded Reload
	s_waitcnt vmcnt(2)
	v_add_f64 v[111:112], v[111:112], v[113:114]
	v_mul_f64 v[113:114], v[21:22], v[27:28]
	v_add_f64 v[27:28], v[95:96], v[97:98]
	scratch_load_b64 v[97:98], off, off offset:96 ; 8-byte Folded Reload
	v_fma_f64 v[105:106], v[136:137], s[26:27], -v[109:110]
	v_fma_f64 v[109:110], v[136:137], s[26:27], v[109:110]
	v_fma_f64 v[220:221], v[136:137], s[10:11], v[144:145]
	v_add_f64 v[144:145], v[121:122], v[152:153]
	v_fma_f64 v[121:122], v[39:40], v[41:42], v[190:191]
	v_mul_f64 v[95:96], v[170:171], v[176:177]
	v_mul_f64 v[176:177], v[172:173], v[176:177]
	v_fma_f64 v[113:114], v[23:24], v[25:26], v[113:114]
	v_add_f64 v[142:143], v[109:110], v[154:155]
	v_fma_f64 v[109:110], v[31:32], v[33:34], v[115:116]
	v_mul_f64 v[115:116], v[39:40], v[43:44]
	v_add_f64 v[43:44], v[192:193], v[162:163]
	v_fma_f64 v[162:163], v[47:48], v[49:50], v[202:203]
	v_fma_f64 v[154:155], v[13:14], v[17:18], -v[19:20]
	s_clause 0x1
	scratch_load_b64 v[13:14], off, off offset:24
	scratch_load_b64 v[17:18], off, off offset:16
	v_fma_f64 v[95:96], v[172:173], v[174:175], v[95:96]
	v_mul_f64 v[172:173], v[180:181], v[238:239]
	v_fma_f64 v[33:34], v[29:30], v[33:34], -v[35:36]
	v_mul_f64 v[152:153], v[81:82], v[113:114]
	v_mul_f64 v[35:36], v[142:143], v[109:110]
	v_fma_f64 v[37:38], v[37:38], v[41:42], -v[115:116]
	s_delay_alu instid0(VALU_DEP_2)
	v_fma_f64 v[35:36], v[144:145], v[33:34], -v[35:36]
	s_waitcnt vmcnt(3)
	v_mul_f64 v[166:167], v[128:129], v[107:108]
	v_mul_f64 v[182:183], v[126:127], v[107:108]
	v_fma_f64 v[107:108], v[140:141], s[14:15], v[208:209]
	v_fma_f64 v[140:141], v[136:137], s[24:25], v[214:215]
	v_mul_f64 v[208:209], v[57:58], v[67:68]
	v_add_f64 v[136:137], v[105:106], v[216:217]
	v_mul_f64 v[105:106], v[178:179], v[238:239]
	v_mul_f64 v[214:215], v[246:247], v[252:253]
	v_add_f64 v[101:102], v[107:108], v[101:102]
	v_add_f64 v[134:135], v[140:141], v[158:159]
	v_mul_f64 v[140:141], v[47:48], v[51:52]
	v_add_f64 v[47:48], v[198:199], v[164:165]
	v_mul_f64 v[164:165], v[55:56], v[63:64]
	v_add_f64 v[51:52], v[9:10], v[146:147]
	scratch_load_b64 v[9:10], off, off offset:48 ; 8-byte Folded Reload
	s_waitcnt vmcnt(3)
	v_add_f64 v[103:104], v[103:104], v[97:98]
	scratch_load_b64 v[97:98], off, off offset:88 ; 8-byte Folded Reload
	v_add_f64 v[63:64], v[138:139], v[27:28]
	scratch_load_b64 v[27:28], off, off offset:40 ; 8-byte Folded Reload
	v_fma_f64 v[190:191], v[59:60], v[65:66], v[208:209]
	v_mul_f64 v[158:159], v[85:86], v[15:16]
	v_fma_f64 v[180:181], v[180:181], v[236:237], v[105:106]
	v_mul_f64 v[31:32], v[136:137], v[113:114]
	v_fma_f64 v[192:193], v[248:249], v[250:251], v[214:215]
	v_add_f64 v[107:108], v[194:195], v[200:201]
	v_mul_f64 v[146:147], v[123:124], v[121:122]
	v_mul_f64 v[138:139], v[43:44], v[162:163]
	v_add_f64 v[67:68], v[220:221], v[101:102]
	v_mul_f64 v[39:40], v[134:135], v[121:122]
	v_fma_f64 v[41:42], v[45:46], v[49:50], -v[140:141]
	v_fma_f64 v[49:50], v[57:58], v[65:66], -v[168:169]
	;; [unrolled: 1-line block ×4, first 2 shown]
	v_mul_f64 v[140:141], v[117:118], v[162:163]
	v_mul_f64 v[65:66], v[95:96], v[63:64]
	;; [unrolled: 1-line block ×4, first 2 shown]
	v_fma_f64 v[39:40], v[123:124], v[37:38], -v[39:40]
	v_fma_f64 v[37:38], v[134:135], v[37:38], v[146:147]
	v_fma_f64 v[43:44], v[43:44], v[41:42], -v[140:141]
	v_fma_f64 v[41:42], v[117:118], v[41:42], v[138:139]
	;; [unrolled: 2-line block ×3, first 2 shown]
	s_waitcnt vmcnt(1)
	v_add_f64 v[216:217], v[111:112], v[97:98]
	v_add_f64 v[111:112], v[77:78], v[93:94]
	s_waitcnt vmcnt(0)
	v_add_f64 v[59:60], v[103:104], v[27:28]
	scratch_load_b64 v[27:28], off, off offset:32 ; 8-byte Folded Reload
	v_fma_f64 v[77:78], v[55:56], v[61:62], v[206:207]
	v_add_f64 v[55:56], v[186:187], v[204:205]
	v_mul_f64 v[186:187], v[71:72], v[75:76]
	v_add_f64 v[97:98], v[188:189], v[79:80]
	v_fma_f64 v[79:80], v[71:72], v[73:74], v[212:213]
	v_add_f64 v[75:76], v[150:151], v[99:100]
	v_fma_f64 v[150:151], v[21:22], v[25:26], -v[218:219]
	scratch_load_b64 v[21:22], off, off offset:8 ; 8-byte Folded Reload
	v_mul_f64 v[188:189], v[248:249], v[252:253]
	v_add_f64 v[93:94], v[148:149], v[210:211]
	v_mul_f64 v[61:62], v[95:96], v[67:68]
	v_and_b32_e32 v25, 0xffff, v0
	v_mul_f64 v[148:149], v[144:145], v[109:110]
	v_mul_f64 v[23:24], v[89:90], v[9:10]
	;; [unrolled: 1-line block ×3, first 2 shown]
	v_fma_f64 v[9:10], v[132:133], v[240:241], v[119:120]
	v_fma_f64 v[19:20], v[130:131], v[17:18], -v[184:185]
	v_fma_f64 v[17:18], v[91:92], v[17:18], v[156:157]
	v_mul_u32_u24_e32 v0, 0x227, v25
	v_fma_f64 v[25:26], v[83:84], v[154:155], v[158:159]
	s_delay_alu instid0(VALU_DEP_2) | instskip(NEXT) | instid1(VALU_DEP_1)
	v_lshrrev_b32_e32 v0, 16, v0
	v_mul_lo_u16 v0, 0x121, v0
	s_delay_alu instid0(VALU_DEP_1) | instskip(NEXT) | instid1(VALU_DEP_1)
	v_and_b32_e32 v0, 0xffff, v0
	v_add_nc_u32_e32 v0, v254, v0
	v_mul_f64 v[121:122], v[111:112], v[77:78]
	v_fma_f64 v[53:54], v[69:70], v[73:74], -v[186:187]
	v_fma_f64 v[69:70], v[178:179], v[236:237], -v[172:173]
	v_mul_f64 v[73:74], v[59:60], v[180:181]
	v_mul_f64 v[103:104], v[75:76], v[192:193]
	v_fma_f64 v[31:32], v[81:82], v[150:151], -v[31:32]
	v_mad_u64_u32 v[81:82], null, s4, v0, 0
	v_fma_f64 v[99:100], v[246:247], v[250:251], -v[188:189]
	v_mul_f64 v[101:102], v[93:94], v[192:193]
	v_mul_f64 v[109:110], v[97:98], v[79:80]
	;; [unrolled: 1-line block ×3, first 2 shown]
	v_fma_f64 v[63:64], v[57:58], v[63:64], -v[61:62]
	v_fma_f64 v[61:62], v[57:58], v[67:68], v[65:66]
	v_mul_f64 v[119:120], v[47:48], v[77:78]
	v_fma_f64 v[33:34], v[142:143], v[33:34], v[148:149]
	v_fma_f64 v[29:30], v[136:137], v[150:151], v[152:153]
	v_mov_b32_e32 v57, v82
	v_fma_f64 v[47:48], v[47:48], v[45:46], -v[121:122]
	v_fma_f64 v[77:78], v[93:94], v[99:100], -v[103:104]
	v_fma_f64 v[75:76], v[75:76], v[99:100], v[101:102]
	v_fma_f64 v[55:56], v[55:56], v[53:54], -v[109:110]
	v_fma_f64 v[53:54], v[97:98], v[53:54], v[105:106]
	v_fma_f64 v[45:46], v[111:112], v[45:46], v[119:120]
	s_waitcnt vmcnt(1)
	v_add_f64 v[71:72], v[216:217], v[27:28]
	v_mul_f64 v[27:28], v[83:84], v[15:16]
	v_fma_f64 v[15:16], v[126:127], v[13:14], -v[166:167]
	v_fma_f64 v[13:14], v[128:129], v[13:14], v[182:183]
	s_delay_alu instid0(VALU_DEP_4) | instskip(NEXT) | instid1(VALU_DEP_4)
	v_mul_f64 v[95:96], v[71:72], v[180:181]
	v_fma_f64 v[27:28], v[85:86], v[154:155], -v[27:28]
	scratch_load_b32 v85, off, off          ; 4-byte Folded Reload
	v_fma_f64 v[67:68], v[71:72], v[69:70], -v[73:74]
	v_add_nc_u32_e32 v73, 17, v0
	s_waitcnt vmcnt(1)
	v_fma_f64 v[23:24], v[87:88], v[21:22], -v[23:24]
	v_fma_f64 v[21:22], v[89:90], v[21:22], v[160:161]
	v_fma_f64 v[65:66], v[59:60], v[69:70], v[95:96]
	v_mad_u64_u32 v[58:59], null, s5, v0, v[57:58]
	v_mad_u64_u32 v[59:60], null, s4, v73, 0
	s_delay_alu instid0(VALU_DEP_1) | instskip(NEXT) | instid1(VALU_DEP_1)
	v_dual_mov_b32 v82, v58 :: v_dual_mov_b32 v57, v60
	v_mad_u64_u32 v[71:72], null, s5, v73, v[57:58]
	s_delay_alu instid0(VALU_DEP_1) | instskip(NEXT) | instid1(VALU_DEP_1)
	v_mov_b32_e32 v60, v71
	v_lshlrev_b64 v[59:60], 4, v[59:60]
	s_waitcnt vmcnt(0)
	v_mad_u64_u32 v[79:80], null, s6, v85, 0
	s_delay_alu instid0(VALU_DEP_1) | instskip(SKIP_1) | instid1(VALU_DEP_2)
	v_mad_u64_u32 v[83:84], null, s7, v85, v[80:81]
	v_add_nc_u32_e32 v84, 51, v0
	v_dual_mov_b32 v80, v83 :: v_dual_add_nc_u32 v83, 34, v0
	s_delay_alu instid0(VALU_DEP_1) | instskip(NEXT) | instid1(VALU_DEP_2)
	v_lshlrev_b64 v[69:70], 4, v[79:80]
	v_mad_u64_u32 v[72:73], null, s4, v83, 0
	s_delay_alu instid0(VALU_DEP_4) | instskip(NEXT) | instid1(VALU_DEP_3)
	v_mad_u64_u32 v[79:80], null, s4, v84, 0
	v_add_co_u32 v57, vcc_lo, s0, v69
	s_delay_alu instid0(VALU_DEP_4) | instskip(SKIP_2) | instid1(VALU_DEP_1)
	v_add_co_ci_u32_e32 v58, vcc_lo, s1, v70, vcc_lo
	v_lshlrev_b64 v[69:70], 4, v[81:82]
	v_mov_b32_e32 v71, v73
	v_mad_u64_u32 v[73:74], null, s5, v83, v[71:72]
	v_mov_b32_e32 v71, v80
	s_delay_alu instid0(VALU_DEP_4)
	v_add_co_u32 v69, vcc_lo, v57, v69
	v_add_nc_u32_e32 v74, 0x44, v0
	v_add_co_ci_u32_e32 v70, vcc_lo, v58, v70, vcc_lo
	v_add_co_u32 v59, vcc_lo, v57, v59
	v_mad_u64_u32 v[80:81], null, s5, v84, v[71:72]
	v_add_co_ci_u32_e32 v60, vcc_lo, v58, v60, vcc_lo
	v_mad_u64_u32 v[81:82], null, s4, v74, 0
	s_clause 0x1
	global_store_b128 v[69:70], v[65:68], off
	global_store_b128 v[59:60], v[61:64], off
	v_add_nc_u32_e32 v68, 0x55, v0
	v_lshlrev_b64 v[59:60], 4, v[72:73]
	v_add_nc_u32_e32 v69, 0x66, v0
	v_lshlrev_b64 v[64:65], 4, v[79:80]
	v_mov_b32_e32 v61, v82
	v_mad_u64_u32 v[62:63], null, s4, v68, 0
	v_add_co_u32 v59, vcc_lo, v57, v59
	v_add_co_ci_u32_e32 v60, vcc_lo, v58, v60, vcc_lo
	s_delay_alu instid0(VALU_DEP_3) | instskip(NEXT) | instid1(VALU_DEP_4)
	v_mad_u64_u32 v[66:67], null, s5, v74, v[61:62]
	v_mov_b32_e32 v61, v63
	v_add_co_u32 v63, vcc_lo, v57, v64
	global_store_b128 v[59:60], v[75:78], off
	v_add_co_ci_u32_e32 v64, vcc_lo, v58, v65, vcc_lo
	v_mov_b32_e32 v82, v66
	v_mad_u64_u32 v[65:66], null, s5, v68, v[61:62]
	global_store_b128 v[63:64], v[53:56], off
	v_mad_u64_u32 v[66:67], null, s4, v69, 0
	v_lshlrev_b64 v[59:60], 4, v[81:82]
	v_mov_b32_e32 v63, v65
	s_delay_alu instid0(VALU_DEP_3) | instskip(NEXT) | instid1(VALU_DEP_3)
	v_mov_b32_e32 v53, v67
	v_add_co_u32 v54, vcc_lo, v57, v59
	s_delay_alu instid0(VALU_DEP_4) | instskip(NEXT) | instid1(VALU_DEP_4)
	v_add_co_ci_u32_e32 v55, vcc_lo, v58, v60, vcc_lo
	v_lshlrev_b64 v[59:60], 4, v[62:63]
	s_delay_alu instid0(VALU_DEP_3)
	v_mad_u64_u32 v[61:62], null, s5, v69, v[53:54]
	global_store_b128 v[54:55], v[49:52], off
	v_add_co_u32 v59, vcc_lo, v57, v59
	v_add_co_ci_u32_e32 v60, vcc_lo, v58, v60, vcc_lo
	v_dual_mov_b32 v67, v61 :: v_dual_add_nc_u32 v56, 0x77, v0
	v_add_nc_u32_e32 v54, 0xaa, v0
	v_add_nc_u32_e32 v53, 0x99, v0
	global_store_b128 v[59:60], v[45:48], off
	v_lshlrev_b64 v[45:46], 4, v[66:67]
	v_mad_u64_u32 v[62:63], null, s4, v56, 0
	s_delay_alu instid0(VALU_DEP_2) | instskip(NEXT) | instid1(VALU_DEP_3)
	v_add_co_u32 v45, vcc_lo, v57, v45
	v_add_co_ci_u32_e32 v46, vcc_lo, v58, v46, vcc_lo
	s_delay_alu instid0(VALU_DEP_3)
	v_mov_b32_e32 v49, v63
	global_store_b128 v[45:46], v[41:44], off
	v_mad_u64_u32 v[45:46], null, s4, v54, 0
	v_add_nc_u32_e32 v52, 0x88, v0
	v_mad_u64_u32 v[47:48], null, s5, v56, v[49:50]
	v_mad_u64_u32 v[50:51], null, s4, v53, 0
	s_delay_alu instid0(VALU_DEP_3) | instskip(NEXT) | instid1(VALU_DEP_3)
	v_mad_u64_u32 v[48:49], null, s4, v52, 0
	v_mov_b32_e32 v63, v47
	s_delay_alu instid0(VALU_DEP_2) | instskip(NEXT) | instid1(VALU_DEP_2)
	v_mov_b32_e32 v47, v49
	v_lshlrev_b64 v[41:42], 4, v[62:63]
	s_delay_alu instid0(VALU_DEP_2) | instskip(SKIP_1) | instid1(VALU_DEP_3)
	v_mad_u64_u32 v[43:44], null, s5, v52, v[47:48]
	v_dual_mov_b32 v44, v51 :: v_dual_add_nc_u32 v47, 0xbb, v0
	v_add_co_u32 v41, vcc_lo, v57, v41
	s_delay_alu instid0(VALU_DEP_4) | instskip(NEXT) | instid1(VALU_DEP_3)
	v_add_co_ci_u32_e32 v42, vcc_lo, v58, v42, vcc_lo
	v_mad_u64_u32 v[51:52], null, s5, v53, v[44:45]
                                        ; kill: def $vgpr44 killed $sgpr0 killed $exec
	s_delay_alu instid0(VALU_DEP_4)
	v_mad_u64_u32 v[52:53], null, s4, v47, 0
	v_mov_b32_e32 v49, v43
	v_mov_b32_e32 v43, v46
	global_store_b128 v[41:42], v[37:40], off
	v_lshlrev_b64 v[41:42], 4, v[50:51]
	v_lshlrev_b64 v[37:38], 4, v[48:49]
	v_mad_u64_u32 v[39:40], null, s5, v54, v[43:44]
	v_mov_b32_e32 v40, v53
	s_delay_alu instid0(VALU_DEP_3) | instskip(NEXT) | instid1(VALU_DEP_2)
	v_add_co_u32 v37, vcc_lo, v57, v37
	v_mad_u64_u32 v[43:44], null, s5, v47, v[40:41]
	v_add_co_ci_u32_e32 v38, vcc_lo, v58, v38, vcc_lo
	v_mov_b32_e32 v46, v39
	v_add_nc_u32_e32 v44, 0xcc, v0
	global_store_b128 v[37:38], v[33:36], off
	v_add_co_u32 v35, vcc_lo, v57, v41
	v_lshlrev_b64 v[33:34], 4, v[45:46]
	v_mad_u64_u32 v[37:38], null, s4, v44, 0
	v_mov_b32_e32 v53, v43
	v_add_co_ci_u32_e32 v36, vcc_lo, v58, v42, vcc_lo
	s_delay_alu instid0(VALU_DEP_4) | instskip(NEXT) | instid1(VALU_DEP_3)
	v_add_co_u32 v33, vcc_lo, v57, v33
	v_lshlrev_b64 v[39:40], 4, v[52:53]
	v_add_co_ci_u32_e32 v34, vcc_lo, v58, v34, vcc_lo
	s_clause 0x1
	global_store_b128 v[35:36], v[29:32], off
	global_store_b128 v[33:34], v[25:28], off
	v_dual_mov_b32 v25, v38 :: v_dual_add_nc_u32 v32, 0xdd, v0
	v_add_nc_u32_e32 v34, 0xff, v0
	v_add_nc_u32_e32 v33, 0xee, v0
	v_add_co_u32 v26, vcc_lo, v57, v39
	v_add_co_ci_u32_e32 v27, vcc_lo, v58, v40, vcc_lo
	s_delay_alu instid0(VALU_DEP_2)
	v_mad_u64_u32 v[28:29], null, s5, v44, v[25:26]
	v_mad_u64_u32 v[29:30], null, s4, v32, 0
	global_store_b128 v[26:27], v[21:24], off
	v_mad_u64_u32 v[24:25], null, s4, v34, 0
	v_mad_u64_u32 v[21:22], null, s4, v33, 0
	v_dual_mov_b32 v38, v28 :: v_dual_mov_b32 v23, v30
	s_delay_alu instid0(VALU_DEP_1) | instskip(NEXT) | instid1(VALU_DEP_2)
	v_lshlrev_b64 v[26:27], 4, v[37:38]
	v_mad_u64_u32 v[30:31], null, s5, v32, v[23:24]
	v_dual_mov_b32 v0, v25 :: v_dual_add_nc_u32 v23, 0x110, v0
	s_delay_alu instid0(VALU_DEP_3) | instskip(NEXT) | instid1(VALU_DEP_2)
	v_add_co_u32 v25, vcc_lo, v57, v26
	v_mad_u64_u32 v[31:32], null, s5, v33, v[22:23]
	v_mad_u64_u32 v[32:33], null, s4, v23, 0
	v_add_co_ci_u32_e32 v26, vcc_lo, v58, v27, vcc_lo
	v_mad_u64_u32 v[27:28], null, s5, v34, v[0:1]
	s_delay_alu instid0(VALU_DEP_4)
	v_mov_b32_e32 v22, v31
	global_store_b128 v[25:26], v[17:20], off
	v_lshlrev_b64 v[17:18], 4, v[29:30]
	v_mov_b32_e32 v0, v33
	v_lshlrev_b64 v[19:20], 4, v[21:22]
	v_mov_b32_e32 v25, v27
	s_delay_alu instid0(VALU_DEP_4) | instskip(NEXT) | instid1(VALU_DEP_4)
	v_add_co_u32 v17, vcc_lo, v57, v17
	v_mad_u64_u32 v[21:22], null, s5, v23, v[0:1]
	s_delay_alu instid0(VALU_DEP_3)
	v_lshlrev_b64 v[22:23], 4, v[24:25]
	v_add_co_ci_u32_e32 v18, vcc_lo, v58, v18, vcc_lo
	v_add_co_u32 v19, vcc_lo, v57, v19
	v_add_co_ci_u32_e32 v20, vcc_lo, v58, v20, vcc_lo
	v_mov_b32_e32 v33, v21
	v_add_co_u32 v21, vcc_lo, v57, v22
	v_add_co_ci_u32_e32 v22, vcc_lo, v58, v23, vcc_lo
	s_delay_alu instid0(VALU_DEP_3) | instskip(NEXT) | instid1(VALU_DEP_1)
	v_lshlrev_b64 v[24:25], 4, v[32:33]
	v_add_co_u32 v23, vcc_lo, v57, v24
	s_delay_alu instid0(VALU_DEP_2)
	v_add_co_ci_u32_e32 v24, vcc_lo, v58, v25, vcc_lo
	s_clause 0x3
	global_store_b128 v[17:18], v[13:16], off
	global_store_b128 v[19:20], v[9:12], off
	;; [unrolled: 1-line block ×4, first 2 shown]
.LBB0_48:
	s_endpgm
	.section	.rodata,"a",@progbits
	.p2align	6, 0x0
	.amdhsa_kernel fft_rtc_back_len289_factors_17_17_wgs_119_tpt_17_dp_op_CI_CI_sbcc_twdbase8_2step_dirReg_intrinsicRead
		.amdhsa_group_segment_fixed_size 0
		.amdhsa_private_segment_fixed_size 436
		.amdhsa_kernarg_size 112
		.amdhsa_user_sgpr_count 15
		.amdhsa_user_sgpr_dispatch_ptr 0
		.amdhsa_user_sgpr_queue_ptr 0
		.amdhsa_user_sgpr_kernarg_segment_ptr 1
		.amdhsa_user_sgpr_dispatch_id 0
		.amdhsa_user_sgpr_private_segment_size 0
		.amdhsa_wavefront_size32 1
		.amdhsa_uses_dynamic_stack 0
		.amdhsa_enable_private_segment 1
		.amdhsa_system_sgpr_workgroup_id_x 1
		.amdhsa_system_sgpr_workgroup_id_y 0
		.amdhsa_system_sgpr_workgroup_id_z 0
		.amdhsa_system_sgpr_workgroup_info 0
		.amdhsa_system_vgpr_workitem_id 0
		.amdhsa_next_free_vgpr 256
		.amdhsa_next_free_sgpr 66
		.amdhsa_reserve_vcc 1
		.amdhsa_float_round_mode_32 0
		.amdhsa_float_round_mode_16_64 0
		.amdhsa_float_denorm_mode_32 3
		.amdhsa_float_denorm_mode_16_64 3
		.amdhsa_dx10_clamp 1
		.amdhsa_ieee_mode 1
		.amdhsa_fp16_overflow 0
		.amdhsa_workgroup_processor_mode 1
		.amdhsa_memory_ordered 1
		.amdhsa_forward_progress 0
		.amdhsa_shared_vgpr_count 0
		.amdhsa_exception_fp_ieee_invalid_op 0
		.amdhsa_exception_fp_denorm_src 0
		.amdhsa_exception_fp_ieee_div_zero 0
		.amdhsa_exception_fp_ieee_overflow 0
		.amdhsa_exception_fp_ieee_underflow 0
		.amdhsa_exception_fp_ieee_inexact 0
		.amdhsa_exception_int_div_zero 0
	.end_amdhsa_kernel
	.text
.Lfunc_end0:
	.size	fft_rtc_back_len289_factors_17_17_wgs_119_tpt_17_dp_op_CI_CI_sbcc_twdbase8_2step_dirReg_intrinsicRead, .Lfunc_end0-fft_rtc_back_len289_factors_17_17_wgs_119_tpt_17_dp_op_CI_CI_sbcc_twdbase8_2step_dirReg_intrinsicRead
                                        ; -- End function
	.section	.AMDGPU.csdata,"",@progbits
; Kernel info:
; codeLenInByte = 21904
; NumSgprs: 68
; NumVgprs: 256
; ScratchSize: 436
; MemoryBound: 0
; FloatMode: 240
; IeeeMode: 1
; LDSByteSize: 0 bytes/workgroup (compile time only)
; SGPRBlocks: 8
; VGPRBlocks: 31
; NumSGPRsForWavesPerEU: 68
; NumVGPRsForWavesPerEU: 256
; Occupancy: 5
; WaveLimiterHint : 1
; COMPUTE_PGM_RSRC2:SCRATCH_EN: 1
; COMPUTE_PGM_RSRC2:USER_SGPR: 15
; COMPUTE_PGM_RSRC2:TRAP_HANDLER: 0
; COMPUTE_PGM_RSRC2:TGID_X_EN: 1
; COMPUTE_PGM_RSRC2:TGID_Y_EN: 0
; COMPUTE_PGM_RSRC2:TGID_Z_EN: 0
; COMPUTE_PGM_RSRC2:TIDIG_COMP_CNT: 0
	.text
	.p2alignl 7, 3214868480
	.fill 96, 4, 3214868480
	.type	__hip_cuid_f49c06b0f9e84211,@object ; @__hip_cuid_f49c06b0f9e84211
	.section	.bss,"aw",@nobits
	.globl	__hip_cuid_f49c06b0f9e84211
__hip_cuid_f49c06b0f9e84211:
	.byte	0                               ; 0x0
	.size	__hip_cuid_f49c06b0f9e84211, 1

	.ident	"AMD clang version 19.0.0git (https://github.com/RadeonOpenCompute/llvm-project roc-6.4.0 25133 c7fe45cf4b819c5991fe208aaa96edf142730f1d)"
	.section	".note.GNU-stack","",@progbits
	.addrsig
	.addrsig_sym __hip_cuid_f49c06b0f9e84211
	.amdgpu_metadata
---
amdhsa.kernels:
  - .args:
      - .actual_access:  read_only
        .address_space:  global
        .offset:         0
        .size:           8
        .value_kind:     global_buffer
      - .address_space:  global
        .offset:         8
        .size:           8
        .value_kind:     global_buffer
      - .offset:         16
        .size:           8
        .value_kind:     by_value
      - .actual_access:  read_only
        .address_space:  global
        .offset:         24
        .size:           8
        .value_kind:     global_buffer
      - .actual_access:  read_only
        .address_space:  global
        .offset:         32
        .size:           8
        .value_kind:     global_buffer
      - .actual_access:  read_only
        .address_space:  global
        .offset:         40
        .size:           8
        .value_kind:     global_buffer
      - .offset:         48
        .size:           8
        .value_kind:     by_value
      - .actual_access:  read_only
        .address_space:  global
        .offset:         56
        .size:           8
        .value_kind:     global_buffer
      - .actual_access:  read_only
        .address_space:  global
        .offset:         64
        .size:           8
        .value_kind:     global_buffer
      - .offset:         72
        .size:           4
        .value_kind:     by_value
      - .actual_access:  read_only
        .address_space:  global
        .offset:         80
        .size:           8
        .value_kind:     global_buffer
      - .actual_access:  read_only
        .address_space:  global
        .offset:         88
        .size:           8
        .value_kind:     global_buffer
      - .actual_access:  read_only
        .address_space:  global
        .offset:         96
        .size:           8
        .value_kind:     global_buffer
      - .actual_access:  write_only
        .address_space:  global
        .offset:         104
        .size:           8
        .value_kind:     global_buffer
    .group_segment_fixed_size: 0
    .kernarg_segment_align: 8
    .kernarg_segment_size: 112
    .language:       OpenCL C
    .language_version:
      - 2
      - 0
    .max_flat_workgroup_size: 119
    .name:           fft_rtc_back_len289_factors_17_17_wgs_119_tpt_17_dp_op_CI_CI_sbcc_twdbase8_2step_dirReg_intrinsicRead
    .private_segment_fixed_size: 436
    .sgpr_count:     68
    .sgpr_spill_count: 0
    .symbol:         fft_rtc_back_len289_factors_17_17_wgs_119_tpt_17_dp_op_CI_CI_sbcc_twdbase8_2step_dirReg_intrinsicRead.kd
    .uniform_work_group_size: 1
    .uses_dynamic_stack: false
    .vgpr_count:     256
    .vgpr_spill_count: 149
    .wavefront_size: 32
    .workgroup_processor_mode: 1
amdhsa.target:   amdgcn-amd-amdhsa--gfx1100
amdhsa.version:
  - 1
  - 2
...

	.end_amdgpu_metadata
